;; amdgpu-corpus repo=ROCm/rocFFT kind=compiled arch=gfx1201 opt=O3
	.text
	.amdgcn_target "amdgcn-amd-amdhsa--gfx1201"
	.amdhsa_code_object_version 6
	.protected	bluestein_single_back_len1944_dim1_half_op_CI_CI ; -- Begin function bluestein_single_back_len1944_dim1_half_op_CI_CI
	.globl	bluestein_single_back_len1944_dim1_half_op_CI_CI
	.p2align	8
	.type	bluestein_single_back_len1944_dim1_half_op_CI_CI,@function
bluestein_single_back_len1944_dim1_half_op_CI_CI: ; @bluestein_single_back_len1944_dim1_half_op_CI_CI
; %bb.0:
	s_load_b128 s[8:11], s[0:1], 0x28
	v_mul_u32_u24_e32 v1, 0x10e, v0
	s_mov_b32 s2, exec_lo
	v_mov_b32_e32 v10, 0
	s_delay_alu instid0(VALU_DEP_2) | instskip(NEXT) | instid1(VALU_DEP_1)
	v_lshrrev_b32_e32 v1, 16, v1
	v_add_nc_u32_e32 v9, ttmp9, v1
	s_wait_kmcnt 0x0
	s_delay_alu instid0(VALU_DEP_1)
	v_cmpx_gt_u64_e64 s[8:9], v[9:10]
	s_cbranch_execz .LBB0_47
; %bb.1:
	s_clause 0x1
	s_load_b128 s[4:7], s[0:1], 0x18
	s_load_b64 s[16:17], s[0:1], 0x0
	v_mul_lo_u16 v1, 0xf3, v1
	s_movk_i32 s2, 0xfbe3
	s_mov_b32 s3, -1
	s_delay_alu instid0(VALU_DEP_1) | instskip(NEXT) | instid1(VALU_DEP_1)
	v_sub_nc_u16 v10, v0, v1
	v_and_b32_e32 v47, 0xffff, v10
	s_wait_kmcnt 0x0
	s_load_b128 s[12:15], s[4:5], 0x0
	s_wait_kmcnt 0x0
	v_mad_co_u64_u32 v[0:1], null, s14, v9, 0
	v_mad_co_u64_u32 v[2:3], null, s12, v47, 0
	s_mul_u64 s[4:5], s[12:13], 0x288
	s_mul_u64 s[2:3], s[12:13], s[2:3]
	s_delay_alu instid0(SALU_CYCLE_1) | instskip(NEXT) | instid1(VALU_DEP_1)
	s_lshl_b64 s[2:3], s[2:3], 2
	v_mad_co_u64_u32 v[4:5], null, s15, v9, v[1:2]
	s_delay_alu instid0(VALU_DEP_1) | instskip(NEXT) | instid1(VALU_DEP_3)
	v_dual_mov_b32 v1, v4 :: v_dual_lshlrev_b32 v40, 2, v47
	v_mad_co_u64_u32 v[5:6], null, s13, v47, v[3:4]
	s_lshl_b64 s[12:13], s[4:5], 2
	global_load_b32 v49, v40, s[16:17]
	v_lshlrev_b64_e32 v[0:1], 2, v[0:1]
	s_clause 0x4
	global_load_b32 v41, v40, s[16:17] offset:6156
	global_load_b32 v48, v40, s[16:17] offset:5184
	;; [unrolled: 1-line block ×5, first 2 shown]
	v_mov_b32_e32 v3, v5
	v_add_co_u32 v0, vcc_lo, s10, v0
	v_add_co_ci_u32_e32 v1, vcc_lo, s11, v1, vcc_lo
	s_delay_alu instid0(VALU_DEP_3) | instskip(NEXT) | instid1(VALU_DEP_1)
	v_lshlrev_b64_e32 v[2:3], 2, v[2:3]
	v_add_co_u32 v0, vcc_lo, v0, v2
	s_wait_alu 0xfffd
	s_delay_alu instid0(VALU_DEP_2) | instskip(SKIP_1) | instid1(VALU_DEP_2)
	v_add_co_ci_u32_e32 v1, vcc_lo, v1, v3, vcc_lo
	s_wait_alu 0xfffe
	v_add_co_u32 v2, vcc_lo, v0, s12
	s_wait_alu 0xfffd
	s_delay_alu instid0(VALU_DEP_2)
	v_add_co_ci_u32_e32 v3, vcc_lo, s13, v1, vcc_lo
	s_clause 0x1
	global_load_b32 v6, v[0:1], off
	global_load_b32 v11, v[2:3], off
	v_add_co_u32 v0, vcc_lo, v2, s12
	s_wait_alu 0xfffd
	v_add_co_ci_u32_e32 v1, vcc_lo, s13, v3, vcc_lo
	s_delay_alu instid0(VALU_DEP_2) | instskip(SKIP_1) | instid1(VALU_DEP_2)
	v_add_co_u32 v2, vcc_lo, v0, s2
	s_wait_alu 0xfffd
	v_add_co_ci_u32_e32 v3, vcc_lo, s3, v1, vcc_lo
	global_load_b32 v12, v[0:1], off
	v_add_co_u32 v4, vcc_lo, v2, s12
	global_load_b32 v2, v[2:3], off
	s_wait_alu 0xfffd
	v_add_co_ci_u32_e32 v5, vcc_lo, s13, v3, vcc_lo
	v_add_co_u32 v0, vcc_lo, v4, s12
	s_wait_alu 0xfffd
	s_delay_alu instid0(VALU_DEP_2)
	v_add_co_ci_u32_e32 v1, vcc_lo, s13, v5, vcc_lo
	global_load_b32 v3, v[4:5], off
	global_load_b32 v4, v[0:1], off
	s_load_b64 s[4:5], s[0:1], 0x38
	s_load_b128 s[8:11], s[6:7], 0x0
	v_add_co_u32 v7, s6, s16, v40
	s_delay_alu instid0(VALU_DEP_1)
	v_add_co_ci_u32_e64 v8, null, s17, 0, s6
	v_cmp_gt_u16_e32 vcc_lo, 0xa2, v10
	s_wait_loadcnt 0xa
	v_lshrrev_b32_e32 v42, 16, v41
	v_lshrrev_b32_e32 v53, 16, v49
	s_wait_loadcnt 0x7
	v_lshrrev_b32_e32 v52, 16, v51
	v_lshrrev_b32_e32 v50, 16, v48
	;; [unrolled: 3-line block ×3, first 2 shown]
	s_wait_loadcnt 0x5
	v_lshrrev_b32_e32 v5, 16, v6
	v_mul_f16_e32 v13, v53, v6
	s_wait_loadcnt 0x4
	v_lshrrev_b32_e32 v15, 16, v11
	v_mul_f16_e32 v16, v52, v11
	v_mul_f16_e32 v14, v53, v5
	v_fma_f16 v5, v49, v5, -v13
	s_delay_alu instid0(VALU_DEP_4) | instskip(NEXT) | instid1(VALU_DEP_4)
	v_mul_f16_e32 v13, v52, v15
	v_fma_f16 v15, v51, v15, -v16
	s_delay_alu instid0(VALU_DEP_4) | instskip(SKIP_3) | instid1(VALU_DEP_3)
	v_fmac_f16_e32 v14, v49, v6
	s_wait_loadcnt 0x3
	v_lshrrev_b32_e32 v6, 16, v12
	v_mul_f16_e32 v16, v50, v12
	v_pack_b32_f16 v5, v14, v5
	v_fmac_f16_e32 v13, v51, v11
	s_wait_loadcnt 0x2
	v_lshrrev_b32_e32 v11, 16, v2
	v_mul_f16_e32 v14, v50, v6
	v_fma_f16 v6, v48, v6, -v16
	v_mul_f16_e32 v16, v46, v2
	s_delay_alu instid0(VALU_DEP_4) | instskip(NEXT) | instid1(VALU_DEP_4)
	v_mul_f16_e32 v17, v46, v11
	v_fmac_f16_e32 v14, v48, v12
	s_wait_loadcnt 0x1
	v_lshrrev_b32_e32 v12, 16, v3
	s_wait_loadcnt 0x0
	v_lshrrev_b32_e32 v18, 16, v4
	v_fma_f16 v11, v45, v11, -v16
	v_mul_f16_e32 v16, v44, v3
	v_mul_f16_e32 v20, v42, v4
	v_mul_f16_e32 v19, v44, v12
	v_mul_f16_e32 v21, v42, v18
	v_fmac_f16_e32 v17, v45, v2
	v_fma_f16 v2, v43, v12, -v16
	v_pack_b32_f16 v6, v14, v6
	v_fmac_f16_e32 v19, v43, v3
	v_fma_f16 v3, v41, v18, -v20
	v_fmac_f16_e32 v21, v41, v4
	v_pack_b32_f16 v4, v13, v15
	v_pack_b32_f16 v11, v17, v11
	v_pack_b32_f16 v2, v19, v2
	s_delay_alu instid0(VALU_DEP_4)
	v_pack_b32_f16 v3, v21, v3
	ds_store_b32 v40, v4 offset:2592
	ds_store_b32 v40, v6 offset:5184
	ds_store_2addr_b32 v40, v5, v11 offset1:243
	ds_store_b32 v40, v2 offset:3564
	ds_store_b32 v40, v3 offset:6156
	s_and_saveexec_b32 s6, vcc_lo
	s_cbranch_execz .LBB0_3
; %bb.2:
	v_add_co_u32 v0, s2, v0, s2
	s_wait_alu 0xf1ff
	v_add_co_ci_u32_e64 v1, s2, s3, v1, s2
	global_load_b32 v6, v[7:8], off offset:1944
	v_add_co_u32 v2, s2, v0, s12
	s_wait_alu 0xf1ff
	v_add_co_ci_u32_e64 v3, s2, s13, v1, s2
	s_delay_alu instid0(VALU_DEP_2) | instskip(SKIP_1) | instid1(VALU_DEP_2)
	v_add_co_u32 v4, s2, v2, s12
	s_wait_alu 0xf1ff
	v_add_co_ci_u32_e64 v5, s2, s13, v3, s2
	global_load_b32 v10, v[7:8], off offset:4536
	global_load_b32 v0, v[0:1], off
	global_load_b32 v1, v[7:8], off offset:7128
	global_load_b32 v2, v[2:3], off
	global_load_b32 v3, v[4:5], off
	s_wait_loadcnt 0x5
	v_lshrrev_b32_e32 v4, 16, v6
	s_wait_loadcnt 0x4
	v_lshrrev_b32_e32 v5, 16, v10
	;; [unrolled: 2-line block ×3, first 2 shown]
	v_mul_f16_e32 v12, v4, v0
	s_wait_loadcnt 0x1
	v_lshrrev_b32_e32 v14, 16, v2
	v_lshrrev_b32_e32 v13, 16, v1
	s_wait_loadcnt 0x0
	v_lshrrev_b32_e32 v15, 16, v3
	v_mul_f16_e32 v4, v4, v11
	v_fma_f16 v11, v6, v11, -v12
	v_mul_f16_e32 v12, v5, v2
	v_mul_f16_e32 v5, v5, v14
	;; [unrolled: 1-line block ×4, first 2 shown]
	v_fmac_f16_e32 v4, v6, v0
	v_fma_f16 v0, v10, v14, -v12
	v_fmac_f16_e32 v5, v10, v2
	v_fmac_f16_e32 v16, v1, v3
	v_fma_f16 v1, v1, v15, -v13
	v_pack_b32_f16 v2, v4, v11
	s_delay_alu instid0(VALU_DEP_4) | instskip(NEXT) | instid1(VALU_DEP_3)
	v_pack_b32_f16 v0, v5, v0
	v_pack_b32_f16 v1, v16, v1
	ds_store_b32 v40, v2 offset:1944
	ds_store_b32 v40, v0 offset:4536
	;; [unrolled: 1-line block ×3, first 2 shown]
.LBB0_3:
	s_wait_alu 0xfffe
	s_or_b32 exec_lo, exec_lo, s6
	v_add_nc_u32_e32 v0, 0xa00, v40
	v_add_nc_u32_e32 v1, 0x1440, v40
	global_wb scope:SCOPE_SE
	s_wait_dscnt 0x0
	s_wait_kmcnt 0x0
	s_barrier_signal -1
	s_barrier_wait -1
	global_inv scope:SCOPE_SE
	ds_load_2addr_b32 v[2:3], v40 offset1:243
	ds_load_2addr_b32 v[4:5], v0 offset0:8 offset1:251
	ds_load_2addr_b32 v[0:1], v1 offset1:243
                                        ; implicit-def: $vgpr6
                                        ; implicit-def: $vgpr11
                                        ; implicit-def: $vgpr10
	s_and_saveexec_b32 s2, vcc_lo
	s_cbranch_execz .LBB0_5
; %bb.4:
	ds_load_b32 v10, v40 offset:1944
	ds_load_b32 v11, v40 offset:4536
	;; [unrolled: 1-line block ×3, first 2 shown]
.LBB0_5:
	s_wait_alu 0xfffe
	s_or_b32 exec_lo, exec_lo, s2
	s_wait_dscnt 0x0
	v_pk_add_f16 v12, v6, v11
	v_pk_add_f16 v13, v11, v6 neg_lo:[0,1] neg_hi:[0,1]
	v_pk_add_f16 v11, v11, v10
	v_add_co_u32 v30, s2, 0xf3, v47
	s_delay_alu instid0(VALU_DEP_4) | instskip(NEXT) | instid1(VALU_DEP_4)
	v_pk_fma_f16 v10, v12, 0.5, v10 op_sel_hi:[1,0,1] neg_lo:[1,0,0] neg_hi:[1,0,0]
	v_pk_mul_f16 v12, 0x3aee, v13 op_sel_hi:[0,1]
	s_load_b64 s[0:1], s[0:1], 0x8
	v_pk_add_f16 v13, v2, v4
	v_pk_add_f16 v16, v6, v11
	v_mul_lo_u16 v6, v47, 3
	v_pk_add_f16 v17, v10, v12 op_sel:[0,1] op_sel_hi:[1,0]
	v_pk_add_f16 v19, v10, v12 op_sel:[0,1] op_sel_hi:[1,0] neg_lo:[0,1] neg_hi:[0,1]
	v_pk_add_f16 v10, v4, v0
	v_pk_add_f16 v4, v4, v0 neg_lo:[0,1] neg_hi:[0,1]
	v_add_co_ci_u32_e64 v14, null, 0, 0, s2
	v_pk_add_f16 v14, v3, v5
	s_delay_alu instid0(VALU_DEP_4)
	v_pk_fma_f16 v2, v10, 0.5, v2 op_sel_hi:[1,0,1] neg_lo:[1,0,0] neg_hi:[1,0,0]
	v_pk_add_f16 v10, v5, v1
	v_pk_add_f16 v5, v5, v1 neg_lo:[0,1] neg_hi:[0,1]
	v_and_b32_e32 v6, 0xffff, v6
	v_pk_mul_f16 v4, 0x3aee, v4 op_sel_hi:[0,1]
	v_add_co_u32 v28, s2, 0x1e6, v47
	v_pk_fma_f16 v3, v10, 0.5, v3 op_sel_hi:[1,0,1] neg_lo:[1,0,0] neg_hi:[1,0,0]
	v_pk_mul_f16 v5, 0x3aee, v5 op_sel_hi:[0,1]
	v_lshlrev_b32_e32 v54, 2, v6
	v_pk_add_f16 v6, v2, v4 op_sel:[0,1] op_sel_hi:[1,0]
	v_pk_add_f16 v2, v2, v4 op_sel:[0,1] op_sel_hi:[1,0] neg_lo:[0,1] neg_hi:[0,1]
	v_mul_u32_u24_e32 v4, 3, v30
	v_pk_add_f16 v10, v3, v5 op_sel:[0,1] op_sel_hi:[1,0]
	v_pk_add_f16 v3, v3, v5 op_sel:[0,1] op_sel_hi:[1,0] neg_lo:[0,1] neg_hi:[0,1]
	s_wait_alu 0xf1ff
	v_add_co_ci_u32_e64 v29, null, 0, 0, s2
	v_lshrrev_b32_e32 v18, 16, v17
	v_pk_add_f16 v0, v13, v0
	v_bfi_b32 v5, 0xffff, v6, v2
	v_lshlrev_b32_e32 v56, 2, v4
	v_mul_u32_u24_e32 v55, 3, v28
	v_bfi_b32 v2, 0xffff, v2, v6
	v_pk_add_f16 v1, v14, v1
	v_bfi_b32 v4, 0xffff, v10, v3
	v_bfi_b32 v3, 0xffff, v3, v10
	global_wb scope:SCOPE_SE
	s_wait_kmcnt 0x0
	s_barrier_signal -1
	s_barrier_wait -1
	global_inv scope:SCOPE_SE
	ds_store_2addr_b32 v54, v0, v5 offset1:1
	ds_store_b32 v54, v2 offset:8
	ds_store_2addr_b32 v56, v1, v4 offset1:1
	ds_store_b32 v56, v3 offset:8
	s_and_saveexec_b32 s2, vcc_lo
	s_cbranch_execz .LBB0_7
; %bb.6:
	v_lshlrev_b32_e32 v0, 2, v55
	v_bfi_b32 v1, 0xffff, v17, v19
	v_perm_b32 v2, v18, v19, 0x5040100
	ds_store_b32 v0, v16
	ds_store_2addr_b32 v0, v1, v2 offset0:1 offset1:2
.LBB0_7:
	s_wait_alu 0xfffe
	s_or_b32 exec_lo, exec_lo, s2
	v_add_nc_u32_e32 v2, 0xa00, v40
	v_add_nc_u32_e32 v3, 0x1440, v40
	global_wb scope:SCOPE_SE
	s_wait_dscnt 0x0
	s_barrier_signal -1
	s_barrier_wait -1
	global_inv scope:SCOPE_SE
	ds_load_2addr_b32 v[0:1], v40 offset1:243
	ds_load_2addr_b32 v[4:5], v2 offset0:8 offset1:251
	ds_load_2addr_b32 v[2:3], v3 offset1:243
	s_and_saveexec_b32 s2, vcc_lo
	s_cbranch_execz .LBB0_9
; %bb.8:
	ds_load_b32 v6, v40 offset:7128
	ds_load_b32 v17, v40 offset:4536
	;; [unrolled: 1-line block ×3, first 2 shown]
	s_wait_dscnt 0x2
	v_lshrrev_b32_e32 v18, 16, v6
	s_wait_dscnt 0x1
	v_bfi_b32 v19, 0xffff, v6, v17
.LBB0_9:
	s_wait_alu 0xfffe
	s_or_b32 exec_lo, exec_lo, s2
	v_and_b32_e32 v6, 0xff, v47
	v_and_b32_e32 v23, 0xffff, v30
	;; [unrolled: 1-line block ×3, first 2 shown]
	s_wait_dscnt 0x1
	v_lshrrev_b32_e32 v31, 16, v4
	s_wait_dscnt 0x0
	v_lshrrev_b32_e32 v32, 16, v2
	v_mul_lo_u16 v10, 0xab, v6
	v_mul_u32_u24_e32 v11, 0xaaab, v23
	v_lshrrev_b32_e32 v35, 16, v5
	v_lshrrev_b32_e32 v36, 16, v3
	;; [unrolled: 1-line block ×3, first 2 shown]
	v_lshrrev_b16 v20, 9, v10
	v_mul_u32_u24_e32 v10, 0xaaab, v22
	v_lshrrev_b32_e32 v21, 17, v11
	v_lshrrev_b32_e32 v33, 16, v0
	;; [unrolled: 1-line block ×3, first 2 shown]
	v_mul_lo_u16 v11, v20, 3
	v_lshrrev_b32_e32 v25, 17, v10
	v_mul_lo_u16 v10, v21, 3
	v_and_b32_e32 v20, 0xffff, v20
	s_delay_alu instid0(VALU_DEP_4) | instskip(NEXT) | instid1(VALU_DEP_4)
	v_sub_nc_u16 v11, v47, v11
	v_mul_lo_u16 v12, v25, 3
	s_delay_alu instid0(VALU_DEP_4) | instskip(NEXT) | instid1(VALU_DEP_4)
	v_sub_nc_u16 v24, v30, v10
	v_mul_u32_u24_e32 v20, 9, v20
	s_delay_alu instid0(VALU_DEP_4) | instskip(NEXT) | instid1(VALU_DEP_4)
	v_and_b32_e32 v26, 0xff, v11
	v_sub_nc_u16 v27, v28, v12
	s_delay_alu instid0(VALU_DEP_4)
	v_lshlrev_b16 v10, 1, v24
	v_mad_u16 v21, v21, 9, v24
	v_lshrrev_b32_e32 v24, 16, v16
	v_lshlrev_b32_e32 v11, 3, v26
	v_lshlrev_b16 v12, 1, v27
	v_and_b32_e32 v10, 0xffff, v10
	v_and_b32_e32 v21, 0xffff, v21
	v_mad_u16 v57, v25, 9, v27
	global_load_b64 v[14:15], v11, s[0:1]
	v_and_b32_e32 v11, 0xffff, v12
	v_lshlrev_b32_e32 v10, 2, v10
	v_add_lshl_u32 v59, v20, v26, 2
	v_lshlrev_b32_e32 v58, 2, v21
	s_delay_alu instid0(VALU_DEP_4)
	v_lshlrev_b32_e32 v11, 2, v11
	s_clause 0x1
	global_load_b64 v[12:13], v10, s[0:1]
	global_load_b64 v[10:11], v11, s[0:1]
	global_wb scope:SCOPE_SE
	s_wait_loadcnt 0x0
	s_barrier_signal -1
	s_barrier_wait -1
	global_inv scope:SCOPE_SE
	v_lshrrev_b32_e32 v68, 16, v14
	v_lshrrev_b32_e32 v67, 16, v15
	s_delay_alu instid0(VALU_DEP_2) | instskip(SKIP_1) | instid1(VALU_DEP_3)
	v_mul_f16_e32 v20, v31, v68
	v_mul_f16_e32 v21, v4, v68
	;; [unrolled: 1-line block ×4, first 2 shown]
	v_lshrrev_b32_e32 v66, 16, v12
	v_lshrrev_b32_e32 v65, 16, v13
	;; [unrolled: 1-line block ×4, first 2 shown]
	v_fma_f16 v4, v4, v14, -v20
	v_fmac_f16_e32 v21, v31, v14
	v_fma_f16 v2, v2, v15, -v25
	v_fmac_f16_e32 v26, v32, v15
	v_mul_f16_e32 v20, v35, v66
	v_mul_f16_e32 v25, v5, v66
	;; [unrolled: 1-line block ×8, first 2 shown]
	v_fma_f16 v5, v5, v12, -v20
	v_fmac_f16_e32 v25, v35, v12
	v_fma_f16 v3, v3, v13, -v27
	v_fmac_f16_e32 v31, v36, v13
	;; [unrolled: 2-line block ×3, first 2 shown]
	v_add_f16_e32 v18, v0, v4
	v_sub_f16_e32 v27, v21, v26
	v_add_f16_e32 v32, v33, v21
	v_add_f16_e32 v21, v21, v26
	v_fmac_f16_e32 v38, v37, v10
	v_fma_f16 v19, v19, v11, -v39
	v_add_f16_e32 v20, v4, v2
	v_sub_f16_e32 v4, v4, v2
	v_add_f16_e32 v2, v18, v2
	v_add_f16_e32 v18, v32, v26
	v_fmac_f16_e32 v33, -0.5, v21
	v_add_f16_e32 v21, v5, v3
	v_sub_f16_e32 v26, v25, v31
	v_add_f16_e32 v32, v34, v25
	v_add_f16_e32 v25, v25, v31
	v_fma_f16 v0, -0.5, v20, v0
	v_add_f16_e32 v36, v17, v19
	v_sub_f16_e32 v37, v38, v60
	v_add_f16_e32 v39, v24, v38
	v_add_f16_e32 v38, v38, v60
	;; [unrolled: 1-line block ×3, first 2 shown]
	v_sub_f16_e32 v5, v5, v3
	v_fmac_f16_e32 v1, -0.5, v21
	v_fmac_f16_e32 v34, -0.5, v25
	v_add_f16_e32 v35, v16, v17
	v_sub_f16_e32 v17, v17, v19
	v_fmamk_f16 v61, v27, 0x3aee, v0
	v_fmamk_f16 v62, v4, 0xbaee, v33
	v_fma_f16 v25, -0.5, v36, v16
	v_fmac_f16_e32 v24, -0.5, v38
	v_fmac_f16_e32 v0, 0xbaee, v27
	v_fmac_f16_e32 v33, 0x3aee, v4
	v_add_f16_e32 v3, v20, v3
	v_add_f16_e32 v4, v32, v31
	v_pack_b32_f16 v2, v2, v18
	v_fmamk_f16 v16, v26, 0x3aee, v1
	v_fmamk_f16 v18, v5, 0xbaee, v34
	v_fmac_f16_e32 v1, 0xbaee, v26
	v_fmac_f16_e32 v34, 0x3aee, v5
	v_add_f16_e32 v31, v35, v19
	v_add_f16_e32 v32, v39, v60
	v_fmamk_f16 v26, v37, 0x3aee, v25
	v_fmac_f16_e32 v25, 0xbaee, v37
	v_fmamk_f16 v27, v17, 0xbaee, v24
	v_pack_b32_f16 v5, v61, v62
	v_fmac_f16_e32 v24, 0x3aee, v17
	v_pack_b32_f16 v0, v0, v33
	v_pack_b32_f16 v3, v3, v4
	;; [unrolled: 1-line block ×4, first 2 shown]
	ds_store_2addr_b32 v59, v2, v5 offset1:3
	ds_store_b32 v59, v0 offset:24
	ds_store_2addr_b32 v58, v3, v4 offset1:3
	ds_store_b32 v58, v1 offset:24
	s_and_saveexec_b32 s2, vcc_lo
	s_cbranch_execz .LBB0_11
; %bb.10:
	v_and_b32_e32 v0, 0xffff, v57
	v_perm_b32 v1, v32, v31, 0x5040100
	v_perm_b32 v2, v27, v26, 0x5040100
	;; [unrolled: 1-line block ×3, first 2 shown]
	s_delay_alu instid0(VALU_DEP_4)
	v_lshlrev_b32_e32 v0, 2, v0
	ds_store_2addr_b32 v0, v1, v2 offset1:3
	ds_store_b32 v0, v3 offset:24
.LBB0_11:
	s_wait_alu 0xfffe
	s_or_b32 exec_lo, exec_lo, s2
	v_add_nc_u32_e32 v2, 0xa00, v40
	v_add_nc_u32_e32 v3, 0x1440, v40
	global_wb scope:SCOPE_SE
	s_wait_dscnt 0x0
	s_barrier_signal -1
	s_barrier_wait -1
	global_inv scope:SCOPE_SE
	ds_load_2addr_b32 v[0:1], v40 offset1:243
	ds_load_2addr_b32 v[4:5], v2 offset0:8 offset1:251
	ds_load_2addr_b32 v[2:3], v3 offset1:243
	s_and_saveexec_b32 s2, vcc_lo
	s_cbranch_execz .LBB0_13
; %bb.12:
	ds_load_b32 v31, v40 offset:1944
	ds_load_b32 v26, v40 offset:4536
	;; [unrolled: 1-line block ×3, first 2 shown]
	s_wait_dscnt 0x2
	v_lshrrev_b32_e32 v32, 16, v31
	s_wait_dscnt 0x1
	v_lshrrev_b32_e32 v27, 16, v26
	;; [unrolled: 2-line block ×3, first 2 shown]
.LBB0_13:
	s_wait_alu 0xfffe
	s_or_b32 exec_lo, exec_lo, s2
	v_mul_lo_u16 v16, v6, 57
	v_mul_u32_u24_e32 v17, 0xe38f, v23
	v_mul_u32_u24_e32 v18, 0xe38f, v22
	s_wait_dscnt 0x1
	v_lshrrev_b32_e32 v70, 16, v5
	s_wait_dscnt 0x0
	v_lshrrev_b32_e32 v73, 16, v3
	v_lshrrev_b16 v35, 9, v16
	v_lshrrev_b32_e32 v36, 19, v17
	v_lshrrev_b32_e32 v37, 19, v18
	;; [unrolled: 1-line block ×3, first 2 shown]
	s_delay_alu instid0(VALU_DEP_4) | instskip(NEXT) | instid1(VALU_DEP_4)
	v_mul_lo_u16 v16, v35, 9
	v_mul_lo_u16 v17, v36, 9
	s_delay_alu instid0(VALU_DEP_4) | instskip(NEXT) | instid1(VALU_DEP_3)
	v_mul_lo_u16 v18, v37, 9
	v_sub_nc_u16 v16, v47, v16
	s_delay_alu instid0(VALU_DEP_3) | instskip(NEXT) | instid1(VALU_DEP_3)
	v_sub_nc_u16 v38, v30, v17
	v_sub_nc_u16 v39, v28, v18
	s_delay_alu instid0(VALU_DEP_3) | instskip(NEXT) | instid1(VALU_DEP_3)
	v_and_b32_e32 v61, 0xff, v16
	v_lshlrev_b16 v16, 3, v38
	s_delay_alu instid0(VALU_DEP_3) | instskip(SKIP_1) | instid1(VALU_DEP_4)
	v_lshlrev_b16 v17, 3, v39
	v_mad_u16 v60, v37, 27, v39
	v_lshlrev_b32_e32 v18, 3, v61
	s_delay_alu instid0(VALU_DEP_4) | instskip(NEXT) | instid1(VALU_DEP_4)
	v_and_b32_e32 v16, 0xffff, v16
	v_and_b32_e32 v19, 0xffff, v17
	global_load_b64 v[20:21], v18, s[0:1] offset:24
	v_add_co_u32 v16, s2, s0, v16
	s_wait_alu 0xf1ff
	v_add_co_ci_u32_e64 v17, null, s1, 0, s2
	v_add_co_u32 v33, s2, s0, v19
	s_wait_alu 0xf1ff
	v_add_co_ci_u32_e64 v34, null, s1, 0, s2
	s_clause 0x1
	global_load_b64 v[18:19], v[16:17], off offset:24
	global_load_b64 v[16:17], v[33:34], off offset:24
	v_and_b32_e32 v33, 0xffff, v35
	v_mad_u16 v34, v36, 27, v38
	v_lshrrev_b32_e32 v35, 16, v4
	v_lshrrev_b32_e32 v36, 16, v2
	;; [unrolled: 1-line block ×3, first 2 shown]
	v_mul_u32_u24_e32 v33, 27, v33
	v_and_b32_e32 v34, 0xffff, v34
	global_wb scope:SCOPE_SE
	s_wait_loadcnt 0x0
	s_barrier_signal -1
	s_barrier_wait -1
	v_add_lshl_u32 v62, v33, v61, 2
	v_lshlrev_b32_e32 v61, 2, v34
	global_inv scope:SCOPE_SE
	v_lshrrev_b32_e32 v77, 16, v20
	v_lshrrev_b32_e32 v76, 16, v21
	s_delay_alu instid0(VALU_DEP_2) | instskip(SKIP_1) | instid1(VALU_DEP_3)
	v_mul_f16_e32 v33, v35, v77
	v_mul_f16_e32 v34, v4, v77
	;; [unrolled: 1-line block ×4, first 2 shown]
	v_lshrrev_b32_e32 v75, 16, v18
	v_lshrrev_b32_e32 v74, 16, v19
	;; [unrolled: 1-line block ×4, first 2 shown]
	v_fma_f16 v4, v4, v20, -v33
	v_fmac_f16_e32 v34, v35, v20
	v_fma_f16 v2, v2, v21, -v37
	v_fmac_f16_e32 v39, v36, v21
	v_mul_f16_e32 v33, v70, v75
	v_mul_f16_e32 v35, v5, v75
	v_mul_f16_e32 v36, v73, v74
	v_mul_f16_e32 v37, v3, v74
	v_mul_f16_e32 v81, v25, v71
	v_mul_f16_e32 v78, v27, v72
	v_mul_f16_e32 v79, v26, v72
	v_mul_f16_e32 v80, v24, v71
	v_fma_f16 v5, v5, v18, -v33
	v_fmac_f16_e32 v35, v70, v18
	v_fma_f16 v3, v3, v19, -v36
	v_fmac_f16_e32 v37, v73, v19
	v_fmac_f16_e32 v81, v24, v17
	v_add_f16_e32 v24, v0, v4
	v_sub_f16_e32 v33, v34, v39
	v_add_f16_e32 v36, v69, v34
	v_add_f16_e32 v34, v34, v39
	v_fma_f16 v26, v26, v16, -v78
	v_fmac_f16_e32 v79, v27, v16
	v_fma_f16 v25, v25, v17, -v80
	v_add_f16_e32 v27, v4, v2
	v_sub_f16_e32 v4, v4, v2
	v_add_f16_e32 v2, v24, v2
	v_add_f16_e32 v24, v36, v39
	v_fmac_f16_e32 v69, -0.5, v34
	v_add_f16_e32 v34, v5, v3
	v_sub_f16_e32 v36, v35, v37
	v_add_f16_e32 v39, v38, v35
	v_add_f16_e32 v35, v35, v37
	v_fma_f16 v0, -0.5, v27, v0
	v_add_f16_e32 v73, v26, v25
	v_sub_f16_e32 v78, v79, v81
	v_add_f16_e32 v80, v32, v79
	v_add_f16_e32 v79, v79, v81
	v_add_f16_e32 v27, v1, v5
	v_sub_f16_e32 v5, v5, v3
	v_add_f16_e32 v70, v31, v26
	v_fmac_f16_e32 v1, -0.5, v34
	v_fmac_f16_e32 v38, -0.5, v35
	v_sub_f16_e32 v26, v26, v25
	v_fmamk_f16 v82, v33, 0x3aee, v0
	v_fmamk_f16 v83, v4, 0xbaee, v69
	v_fmac_f16_e32 v31, -0.5, v73
	v_fmac_f16_e32 v32, -0.5, v79
	v_fmac_f16_e32 v0, 0xbaee, v33
	v_fmac_f16_e32 v69, 0x3aee, v4
	v_add_f16_e32 v3, v27, v3
	v_add_f16_e32 v4, v39, v37
	;; [unrolled: 1-line block ×3, first 2 shown]
	v_pack_b32_f16 v2, v2, v24
	v_fmamk_f16 v24, v36, 0x3aee, v1
	v_fmamk_f16 v25, v5, 0xbaee, v38
	v_fmac_f16_e32 v1, 0xbaee, v36
	v_fmac_f16_e32 v38, 0x3aee, v5
	v_add_f16_e32 v34, v80, v81
	v_fmamk_f16 v35, v78, 0x3aee, v31
	v_fmac_f16_e32 v31, 0xbaee, v78
	v_fmamk_f16 v36, v26, 0xbaee, v32
	v_pack_b32_f16 v5, v82, v83
	v_fmac_f16_e32 v32, 0x3aee, v26
	v_pack_b32_f16 v0, v0, v69
	v_pack_b32_f16 v3, v3, v4
	;; [unrolled: 1-line block ×4, first 2 shown]
	ds_store_2addr_b32 v62, v2, v5 offset1:9
	ds_store_b32 v62, v0 offset:72
	ds_store_2addr_b32 v61, v3, v4 offset1:9
	ds_store_b32 v61, v1 offset:72
	s_and_saveexec_b32 s2, vcc_lo
	s_cbranch_execz .LBB0_15
; %bb.14:
	v_and_b32_e32 v0, 0xffff, v60
	v_perm_b32 v1, v34, v33, 0x5040100
	v_perm_b32 v2, v36, v35, 0x5040100
	;; [unrolled: 1-line block ×3, first 2 shown]
	s_delay_alu instid0(VALU_DEP_4)
	v_lshlrev_b32_e32 v0, 2, v0
	ds_store_2addr_b32 v0, v1, v2 offset1:9
	ds_store_b32 v0, v3 offset:72
.LBB0_15:
	s_wait_alu 0xfffe
	s_or_b32 exec_lo, exec_lo, s2
	v_add_nc_u32_e32 v2, 0xa00, v40
	v_add_nc_u32_e32 v3, 0x1440, v40
	global_wb scope:SCOPE_SE
	s_wait_dscnt 0x0
	s_barrier_signal -1
	s_barrier_wait -1
	global_inv scope:SCOPE_SE
	ds_load_2addr_b32 v[0:1], v40 offset1:243
	ds_load_2addr_b32 v[4:5], v2 offset0:8 offset1:251
	ds_load_2addr_b32 v[2:3], v3 offset1:243
	s_and_saveexec_b32 s2, vcc_lo
	s_cbranch_execz .LBB0_17
; %bb.16:
	ds_load_b32 v33, v40 offset:1944
	ds_load_b32 v35, v40 offset:4536
	;; [unrolled: 1-line block ×3, first 2 shown]
	s_wait_dscnt 0x2
	v_lshrrev_b32_e32 v34, 16, v33
	s_wait_dscnt 0x1
	v_lshrrev_b32_e32 v36, 16, v35
	;; [unrolled: 2-line block ×3, first 2 shown]
.LBB0_17:
	s_wait_alu 0xfffe
	s_or_b32 exec_lo, exec_lo, s2
	v_mul_u32_u24_e32 v23, 0x2f69, v23
	v_mul_lo_u16 v24, v6, 19
	v_mul_u32_u24_e32 v22, 0x2f69, v22
	s_wait_dscnt 0x0
	v_lshrrev_b32_e32 v82, 16, v2
	v_lshrrev_b32_e32 v85, 16, v5
	;; [unrolled: 1-line block ×3, first 2 shown]
	v_lshrrev_b16 v39, 9, v24
	v_lshrrev_b32_e32 v22, 16, v22
	v_lshrrev_b32_e32 v86, 16, v3
	s_delay_alu instid0(VALU_DEP_4) | instskip(NEXT) | instid1(VALU_DEP_4)
	v_sub_nc_u16 v24, v30, v23
	v_mul_lo_u16 v25, v39, 27
	s_delay_alu instid0(VALU_DEP_4) | instskip(NEXT) | instid1(VALU_DEP_3)
	v_sub_nc_u16 v26, v28, v22
	v_lshrrev_b16 v24, 1, v24
	s_delay_alu instid0(VALU_DEP_3) | instskip(NEXT) | instid1(VALU_DEP_3)
	v_sub_nc_u16 v25, v47, v25
	v_lshrrev_b16 v26, 1, v26
	s_delay_alu instid0(VALU_DEP_3) | instskip(NEXT) | instid1(VALU_DEP_3)
	v_add_nc_u16 v23, v24, v23
	v_and_b32_e32 v69, 0xff, v25
	s_delay_alu instid0(VALU_DEP_3) | instskip(NEXT) | instid1(VALU_DEP_3)
	v_add_nc_u16 v22, v26, v22
	v_lshrrev_b16 v70, 4, v23
	s_delay_alu instid0(VALU_DEP_3) | instskip(NEXT) | instid1(VALU_DEP_3)
	v_lshlrev_b32_e32 v23, 3, v69
	v_lshrrev_b16 v73, 4, v22
	s_delay_alu instid0(VALU_DEP_3) | instskip(SKIP_3) | instid1(VALU_DEP_2)
	v_mul_lo_u16 v22, v70, 27
	global_load_b64 v[26:27], v23, s[0:1] offset:96
	v_mul_lo_u16 v23, v73, 27
	v_sub_nc_u16 v78, v30, v22
	v_sub_nc_u16 v79, v28, v23
	s_delay_alu instid0(VALU_DEP_2) | instskip(SKIP_1) | instid1(VALU_DEP_3)
	v_lshlrev_b16 v22, 3, v78
	v_mad_u16 v70, 0x51, v70, v78
	v_lshlrev_b16 v23, 3, v79
	v_lshrrev_b32_e32 v78, 16, v1
	s_delay_alu instid0(VALU_DEP_4) | instskip(NEXT) | instid1(VALU_DEP_4)
	v_and_b32_e32 v22, 0xffff, v22
	v_and_b32_e32 v83, 0xffff, v70
	s_delay_alu instid0(VALU_DEP_4) | instskip(NEXT) | instid1(VALU_DEP_3)
	v_and_b32_e32 v24, 0xffff, v23
	v_add_co_u32 v22, s2, s0, v22
	s_wait_alu 0xf1ff
	v_add_co_ci_u32_e64 v23, null, s1, 0, s2
	s_delay_alu instid0(VALU_DEP_3)
	v_add_co_u32 v37, s2, s0, v24
	s_wait_alu 0xf1ff
	v_add_co_ci_u32_e64 v38, null, s1, 0, s2
	s_clause 0x1
	global_load_b64 v[24:25], v[22:23], off offset:96
	global_load_b64 v[22:23], v[37:38], off offset:96
	v_and_b32_e32 v37, 0xffff, v39
	v_lshrrev_b32_e32 v39, 16, v4
	v_lshrrev_b32_e32 v38, 16, v0
	global_wb scope:SCOPE_SE
	s_wait_loadcnt 0x0
	s_barrier_signal -1
	v_mul_u32_u24_e32 v37, 0x51, v37
	s_barrier_wait -1
	global_inv scope:SCOPE_SE
	v_add_lshl_u32 v70, v37, v69, 2
	v_mad_u16 v69, 0x51, v73, v79
	v_lshlrev_b32_e32 v73, 2, v83
	v_lshrrev_b32_e32 v80, 16, v26
	v_lshrrev_b32_e32 v81, 16, v27
	s_delay_alu instid0(VALU_DEP_2) | instskip(SKIP_1) | instid1(VALU_DEP_3)
	v_mul_f16_e32 v37, v39, v80
	v_mul_f16_e32 v79, v4, v80
	;; [unrolled: 1-line block ×4, first 2 shown]
	s_delay_alu instid0(VALU_DEP_4) | instskip(NEXT) | instid1(VALU_DEP_4)
	v_fma_f16 v4, v4, v26, -v37
	v_fmac_f16_e32 v79, v39, v26
	s_delay_alu instid0(VALU_DEP_4) | instskip(NEXT) | instid1(VALU_DEP_4)
	v_fma_f16 v2, v2, v27, -v83
	v_fmac_f16_e32 v84, v82, v27
	s_delay_alu instid0(VALU_DEP_4) | instskip(NEXT) | instid1(VALU_DEP_4)
	v_add_f16_e32 v37, v0, v4
	v_add_f16_e32 v82, v38, v79
	s_delay_alu instid0(VALU_DEP_4) | instskip(NEXT) | instid1(VALU_DEP_4)
	v_add_f16_e32 v39, v4, v2
	v_sub_f16_e32 v87, v79, v84
	v_add_f16_e32 v79, v79, v84
	v_sub_f16_e32 v4, v4, v2
	v_add_f16_e32 v2, v37, v2
	v_fma_f16 v37, -0.5, v39, v0
	v_add_f16_e32 v0, v82, v84
	v_fmac_f16_e32 v38, -0.5, v79
	s_delay_alu instid0(VALU_DEP_3)
	v_fmamk_f16 v39, v87, 0x3aee, v37
	v_lshrrev_b32_e32 v84, 16, v24
	v_lshrrev_b32_e32 v83, 16, v25
	;; [unrolled: 1-line block ×4, first 2 shown]
	v_fmac_f16_e32 v37, 0xbaee, v87
	v_fmamk_f16 v87, v4, 0xbaee, v38
	v_fmac_f16_e32 v38, 0x3aee, v4
	v_mul_f16_e32 v4, v85, v84
	v_mul_f16_e32 v89, v5, v84
	;; [unrolled: 1-line block ×4, first 2 shown]
	v_pack_b32_f16 v88, v2, v0
	v_mul_f16_e32 v92, v36, v82
	v_mul_f16_e32 v2, v35, v82
	;; [unrolled: 1-line block ×4, first 2 shown]
	v_pack_b32_f16 v37, v37, v38
	v_fma_f16 v5, v5, v24, -v4
	v_fmac_f16_e32 v89, v85, v24
	v_fma_f16 v38, v3, v25, -v90
	v_fmac_f16_e32 v91, v86, v25
	;; [unrolled: 2-line block ×4, first 2 shown]
	v_add_f16_e32 v35, v5, v38
	v_add_f16_e32 v86, v89, v91
	;; [unrolled: 1-line block ×3, first 2 shown]
	v_sub_f16_e32 v36, v89, v91
	v_add_f16_e32 v85, v78, v89
	v_add_f16_e32 v89, v4, v3
	;; [unrolled: 1-line block ×3, first 2 shown]
	v_pack_b32_f16 v39, v39, v87
	v_sub_f16_e32 v87, v5, v38
	v_fmac_f16_e32 v1, -0.5, v35
	v_fmac_f16_e32 v78, -0.5, v86
	v_sub_f16_e32 v5, v2, v0
	v_sub_f16_e32 v32, v4, v3
	v_add_f16_e32 v38, v31, v38
	v_fma_f16 v31, -0.5, v89, v33
	v_fma_f16 v35, -0.5, v90, v34
	v_add_f16_e32 v85, v85, v91
	v_fmamk_f16 v86, v36, 0x3aee, v1
	v_fmac_f16_e32 v1, 0xbaee, v36
	v_fmamk_f16 v36, v87, 0xbaee, v78
	v_fmac_f16_e32 v78, 0x3aee, v87
	v_fmamk_f16 v99, v5, 0xbaee, v31
	v_fmamk_f16 v101, v32, 0x3aee, v35
	v_pack_b32_f16 v38, v38, v85
	v_pack_b32_f16 v36, v86, v36
	;; [unrolled: 1-line block ×3, first 2 shown]
	ds_store_2addr_b32 v70, v88, v39 offset1:27
	ds_store_b32 v70, v37 offset:216
	ds_store_2addr_b32 v73, v38, v36 offset1:27
	ds_store_b32 v73, v1 offset:216
	s_and_saveexec_b32 s2, vcc_lo
	s_cbranch_execz .LBB0_19
; %bb.18:
	v_mul_f16_e32 v1, 0x3aee, v32
	v_add_f16_e32 v2, v34, v2
	v_add_f16_e32 v4, v33, v4
	v_mul_f16_e32 v5, 0x3aee, v5
	s_delay_alu instid0(VALU_DEP_4) | instskip(NEXT) | instid1(VALU_DEP_4)
	v_sub_f16_e32 v1, v35, v1
	v_add_f16_e32 v0, v2, v0
	v_and_b32_e32 v2, 0xffff, v69
	v_add_f16_e32 v3, v4, v3
	v_add_f16_e32 v4, v5, v31
	s_delay_alu instid0(VALU_DEP_3) | instskip(NEXT) | instid1(VALU_DEP_3)
	v_lshlrev_b32_e32 v2, 2, v2
	v_pack_b32_f16 v0, v3, v0
	s_delay_alu instid0(VALU_DEP_3)
	v_pack_b32_f16 v1, v4, v1
	v_perm_b32 v3, v101, v99, 0x5040100
	ds_store_2addr_b32 v2, v0, v1 offset1:27
	ds_store_b32 v2, v3 offset:216
.LBB0_19:
	s_wait_alu 0xfffe
	s_or_b32 exec_lo, exec_lo, s2
	v_mul_lo_u16 v0, 0xcb, v6
	global_wb scope:SCOPE_SE
	s_wait_dscnt 0x0
	s_barrier_signal -1
	s_barrier_wait -1
	global_inv scope:SCOPE_SE
	v_lshrrev_b16 v39, 14, v0
	v_add_nc_u32_e32 v33, 0x780, v40
	v_add_nc_u32_e32 v35, 0xf00, v40
	;; [unrolled: 1-line block ×4, first 2 shown]
	v_mul_lo_u16 v0, 0x51, v39
	v_and_b32_e32 v39, 0xffff, v39
	v_add_nc_u32_e32 v86, 0x1440, v40
	s_delay_alu instid0(VALU_DEP_3) | instskip(NEXT) | instid1(VALU_DEP_3)
	v_sub_nc_u16 v0, v47, v0
	v_mul_u32_u24_e32 v39, 0x288, v39
	s_delay_alu instid0(VALU_DEP_2) | instskip(NEXT) | instid1(VALU_DEP_1)
	v_and_b32_e32 v78, 0xff, v0
	v_mad_co_u64_u32 v[4:5], null, v78, 28, s[0:1]
	s_delay_alu instid0(VALU_DEP_3)
	v_add_lshl_u32 v78, v39, v78, 2
	s_clause 0x1
	global_load_b128 v[0:3], v[4:5], off offset:312
	global_load_b96 v[4:6], v[4:5], off offset:328
	ds_load_2addr_b32 v[31:32], v40 offset1:243
	ds_load_2addr_b32 v[33:34], v33 offset0:6 offset1:249
	ds_load_2addr_b32 v[35:36], v35 offset0:12 offset1:255
	;; [unrolled: 1-line block ×3, first 2 shown]
	v_add_nc_u32_e32 v105, 0x600, v78
	v_add_nc_u32_e32 v104, 0x400, v78
	global_wb scope:SCOPE_SE
	s_wait_loadcnt_dscnt 0x0
	s_barrier_signal -1
	s_barrier_wait -1
	global_inv scope:SCOPE_SE
	v_lshrrev_b32_e32 v95, 16, v33
	v_lshrrev_b32_e32 v91, 16, v32
	;; [unrolled: 1-line block ×15, first 2 shown]
	v_mul_f16_e32 v103, v91, v97
	v_mul_f16_e32 v106, v32, v97
	;; [unrolled: 1-line block ×14, first 2 shown]
	v_fma_f16 v32, v32, v0, -v103
	v_fmac_f16_e32 v106, v91, v0
	v_fma_f16 v33, v33, v1, -v107
	v_fmac_f16_e32 v108, v95, v1
	;; [unrolled: 2-line block ×7, first 2 shown]
	v_sub_f16_e32 v35, v31, v35
	v_sub_f16_e32 v39, v89, v112
	;; [unrolled: 1-line block ×8, first 2 shown]
	v_fma_f16 v31, v31, 2.0, -v35
	v_fma_f16 v89, v89, 2.0, -v39
	;; [unrolled: 1-line block ×8, first 2 shown]
	v_sub_f16_e32 v91, v35, v91
	v_add_f16_e32 v37, v39, v37
	v_sub_f16_e32 v96, v36, v96
	v_add_f16_e32 v38, v95, v38
	v_sub_f16_e32 v33, v31, v33
	v_sub_f16_e32 v106, v89, v98
	v_fma_f16 v35, v35, 2.0, -v91
	v_fma_f16 v39, v39, 2.0, -v37
	v_sub_f16_e32 v34, v32, v34
	v_sub_f16_e32 v98, v100, v102
	v_fma_f16 v36, v36, 2.0, -v96
	v_fma_f16 v95, v95, 2.0, -v38
	v_fmamk_f16 v102, v96, 0x39a8, v91
	v_fmamk_f16 v103, v38, 0x39a8, v37
	v_fma_f16 v31, v31, 2.0, -v33
	v_fma_f16 v89, v89, 2.0, -v106
	;; [unrolled: 1-line block ×4, first 2 shown]
	v_fmamk_f16 v108, v36, 0xb9a8, v35
	v_fmamk_f16 v109, v95, 0xb9a8, v39
	v_sub_f16_e32 v98, v33, v98
	v_add_f16_e32 v100, v106, v34
	v_fmac_f16_e32 v102, 0xb9a8, v38
	v_fmac_f16_e32 v103, 0x39a8, v96
	v_sub_f16_e32 v32, v31, v32
	v_sub_f16_e32 v34, v89, v107
	v_fmac_f16_e32 v108, 0xb9a8, v95
	v_fmac_f16_e32 v109, 0x39a8, v36
	v_fma_f16 v33, v33, 2.0, -v98
	v_fma_f16 v36, v106, 2.0, -v100
	;; [unrolled: 1-line block ×8, first 2 shown]
	v_pack_b32_f16 v91, v98, v100
	v_pack_b32_f16 v95, v102, v103
	;; [unrolled: 1-line block ×8, first 2 shown]
	ds_store_2addr_b32 v105, v91, v95 offset0:102 offset1:183
	ds_store_2addr_b32 v78, v33, v36 offset0:162 offset1:243
	;; [unrolled: 1-line block ×3, first 2 shown]
	ds_store_2addr_b32 v78, v31, v35 offset1:81
	global_wb scope:SCOPE_SE
	s_wait_dscnt 0x0
	s_barrier_signal -1
	s_barrier_wait -1
	global_inv scope:SCOPE_SE
	ds_load_2addr_b32 v[34:35], v40 offset1:243
	ds_load_2addr_b32 v[38:39], v85 offset0:8 offset1:251
	ds_load_2addr_b32 v[36:37], v86 offset1:243
	s_and_saveexec_b32 s2, vcc_lo
	s_cbranch_execz .LBB0_21
; %bb.20:
	ds_load_b32 v98, v40 offset:1944
	ds_load_b32 v102, v40 offset:4536
	;; [unrolled: 1-line block ×3, first 2 shown]
	s_wait_dscnt 0x2
	v_lshrrev_b32_e32 v100, 16, v98
	s_wait_dscnt 0x1
	v_lshrrev_b32_e32 v103, 16, v102
	;; [unrolled: 2-line block ×3, first 2 shown]
.LBB0_21:
	s_wait_alu 0xfffe
	s_or_b32 exec_lo, exec_lo, s2
	v_add_co_u32 v85, s2, 0xffffff5e, v47
	s_wait_alu 0xf1ff
	v_add_co_ci_u32_e64 v86, null, 0, -1, s2
	s_delay_alu instid0(VALU_DEP_2) | instskip(NEXT) | instid1(VALU_DEP_2)
	v_dual_cndmask_b32 v28, v85, v28 :: v_dual_lshlrev_b32 v31, 3, v47
	v_dual_cndmask_b32 v29, v86, v29 :: v_dual_lshlrev_b32 v30, 3, v30
	s_clause 0x1
	global_load_b64 v[32:33], v31, s[0:1] offset:2580
	global_load_b64 v[30:31], v30, s[0:1] offset:2580
	s_wait_dscnt 0x1
	v_lshrrev_b32_e32 v85, 16, v38
	v_lshlrev_b64_e32 v[28:29], 3, v[28:29]
	v_lshrrev_b32_e32 v106, 16, v39
	s_wait_dscnt 0x0
	v_lshrrev_b32_e32 v86, 16, v36
	v_lshrrev_b32_e32 v107, 16, v37
	;; [unrolled: 1-line block ×4, first 2 shown]
	v_add_co_u32 v28, s0, s0, v28
	s_wait_alu 0xf1ff
	v_add_co_ci_u32_e64 v29, s0, s1, v29, s0
	global_load_b64 v[28:29], v[28:29], off offset:2580
	s_wait_loadcnt 0x2
	v_lshrrev_b32_e32 v96, 16, v32
	v_lshrrev_b32_e32 v95, 16, v33
	s_wait_loadcnt 0x1
	v_lshrrev_b32_e32 v91, 16, v30
	v_lshrrev_b32_e32 v89, 16, v31
	v_mul_f16_e32 v108, v85, v96
	v_mul_f16_e32 v109, v38, v96
	;; [unrolled: 1-line block ×8, first 2 shown]
	v_fma_f16 v38, v38, v32, -v108
	v_fmac_f16_e32 v109, v85, v32
	v_fmac_f16_e32 v111, v86, v33
	v_fma_f16 v39, v39, v30, -v112
	v_fmac_f16_e32 v113, v106, v30
	v_fmac_f16_e32 v115, v107, v31
	v_fma_f16 v36, v36, v33, -v110
	v_fma_f16 v37, v37, v31, -v114
	v_add_f16_e32 v106, v34, v38
	v_sub_f16_e32 v108, v109, v111
	v_add_f16_e32 v110, v104, v109
	v_add_f16_e32 v109, v109, v111
	;; [unrolled: 1-line block ×3, first 2 shown]
	v_sub_f16_e32 v116, v113, v115
	v_add_f16_e32 v117, v105, v113
	v_add_f16_e32 v113, v113, v115
	s_wait_loadcnt 0x0
	v_lshrrev_b32_e32 v86, 16, v28
	v_lshrrev_b32_e32 v85, 16, v29
	v_add_f16_e32 v107, v38, v36
	v_sub_f16_e32 v38, v38, v36
	v_add_f16_e32 v114, v39, v37
	v_sub_f16_e32 v39, v39, v37
	v_add_f16_e32 v36, v106, v36
	v_add_f16_e32 v106, v110, v111
	v_fmac_f16_e32 v104, -0.5, v109
	v_add_f16_e32 v37, v112, v37
	v_fmac_f16_e32 v105, -0.5, v113
	v_mul_f16_e32 v109, v103, v86
	v_mul_f16_e32 v110, v102, v86
	;; [unrolled: 1-line block ×4, first 2 shown]
	v_fma_f16 v34, -0.5, v107, v34
	v_fmac_f16_e32 v35, -0.5, v114
	v_fmamk_f16 v114, v39, 0xbaee, v105
	v_fmac_f16_e32 v105, 0x3aee, v39
	v_fma_f16 v39, v102, v28, -v109
	v_fmac_f16_e32 v110, v103, v28
	v_fma_f16 v99, v99, v29, -v111
	v_fmac_f16_e32 v112, v101, v29
	v_fmamk_f16 v113, v108, 0x3aee, v34
	v_fmac_f16_e32 v34, 0xbaee, v108
	v_fmamk_f16 v108, v38, 0xbaee, v104
	;; [unrolled: 2-line block ×3, first 2 shown]
	v_fmac_f16_e32 v35, 0xbaee, v116
	v_add_f16_e32 v101, v39, v99
	v_add_f16_e32 v103, v110, v112
	v_pack_b32_f16 v34, v34, v104
	v_add_f16_e32 v102, v98, v39
	v_pack_b32_f16 v35, v35, v105
	v_sub_f16_e32 v104, v110, v112
	v_add_f16_e32 v105, v100, v110
	v_fmac_f16_e32 v98, -0.5, v101
	v_sub_f16_e32 v39, v39, v99
	v_fmac_f16_e32 v100, -0.5, v103
	v_add_f16_e32 v107, v117, v115
	v_pack_b32_f16 v36, v36, v106
	v_pack_b32_f16 v106, v113, v108
	v_add_f16_e32 v99, v102, v99
	v_add_f16_e32 v101, v105, v112
	v_fmamk_f16 v102, v104, 0x3aee, v98
	v_fmac_f16_e32 v98, 0xbaee, v104
	v_fmamk_f16 v103, v39, 0xbaee, v100
	v_fmac_f16_e32 v100, 0x3aee, v39
	v_pack_b32_f16 v37, v37, v107
	v_pack_b32_f16 v38, v38, v114
	ds_store_b32 v40, v106 offset:2592
	ds_store_b32 v40, v34 offset:5184
	ds_store_2addr_b32 v40, v36, v37 offset1:243
	ds_store_b32 v40, v38 offset:3564
	ds_store_b32 v40, v35 offset:6156
	s_and_saveexec_b32 s0, vcc_lo
	s_cbranch_execz .LBB0_23
; %bb.22:
	v_perm_b32 v34, v101, v99, 0x5040100
	v_perm_b32 v35, v103, v102, 0x5040100
	;; [unrolled: 1-line block ×3, first 2 shown]
	ds_store_b32 v40, v34 offset:1944
	ds_store_b32 v40, v35 offset:4536
	;; [unrolled: 1-line block ×3, first 2 shown]
.LBB0_23:
	s_wait_alu 0xfffe
	s_or_b32 exec_lo, exec_lo, s0
	s_add_nc_u64 s[0:1], s[16:17], 0x1e60
	global_wb scope:SCOPE_SE
	s_wait_dscnt 0x0
	s_barrier_signal -1
	s_barrier_wait -1
	global_inv scope:SCOPE_SE
	s_clause 0x5
	global_load_b32 v36, v[7:8], off offset:7776
	global_load_b32 v104, v40, s[0:1] offset:6156
	global_load_b32 v105, v40, s[0:1] offset:3564
	;; [unrolled: 1-line block ×5, first 2 shown]
	ds_load_2addr_b32 v[34:35], v40 offset1:243
	s_wait_dscnt 0x0
	v_lshrrev_b32_e32 v38, 16, v34
	v_lshrrev_b32_e32 v108, 16, v35
	s_wait_loadcnt 0x5
	v_lshrrev_b32_e32 v39, 16, v36
	s_wait_loadcnt 0x4
	;; [unrolled: 2-line block ×3, first 2 shown]
	v_lshrrev_b32_e32 v109, 16, v37
	v_mul_f16_e32 v110, v38, v39
	v_mul_f16_e32 v39, v34, v39
	s_delay_alu instid0(VALU_DEP_3) | instskip(SKIP_1) | instid1(VALU_DEP_4)
	v_mul_f16_e32 v111, v108, v109
	v_mul_f16_e32 v109, v35, v109
	v_fma_f16 v34, v34, v36, -v110
	s_delay_alu instid0(VALU_DEP_4)
	v_fmac_f16_e32 v39, v38, v36
	s_wait_loadcnt 0x0
	v_lshrrev_b32_e32 v110, 16, v107
	v_fma_f16 v36, v35, v37, -v111
	v_fmac_f16_e32 v109, v108, v37
	v_add_nc_u32_e32 v35, 0x1440, v40
	v_pack_b32_f16 v37, v34, v39
	v_add_nc_u32_e32 v34, 0xa00, v40
	v_lshrrev_b32_e32 v111, 16, v105
	v_pack_b32_f16 v108, v36, v109
	v_lshrrev_b32_e32 v109, 16, v106
	ds_store_b32 v40, v37
	ds_load_2addr_b32 v[36:37], v34 offset0:8 offset1:251
	ds_load_2addr_b32 v[38:39], v35 offset1:243
	s_wait_dscnt 0x1
	v_lshrrev_b32_e32 v113, 16, v36
	v_lshrrev_b32_e32 v117, 16, v37
	s_wait_dscnt 0x0
	v_lshrrev_b32_e32 v115, 16, v38
	v_lshrrev_b32_e32 v119, 16, v39
	v_mul_f16_e32 v114, v36, v109
	v_mul_f16_e32 v118, v37, v111
	;; [unrolled: 1-line block ×8, first 2 shown]
	v_fmac_f16_e32 v114, v113, v106
	v_fmac_f16_e32 v118, v117, v105
	v_fma_f16 v36, v36, v106, -v109
	v_fma_f16 v37, v37, v105, -v111
	v_fmac_f16_e32 v116, v115, v107
	v_fmac_f16_e32 v120, v119, v104
	v_fma_f16 v38, v38, v107, -v110
	v_fma_f16 v39, v39, v104, -v112
	v_pack_b32_f16 v36, v36, v114
	v_pack_b32_f16 v37, v37, v118
	s_delay_alu instid0(VALU_DEP_4) | instskip(NEXT) | instid1(VALU_DEP_4)
	v_pack_b32_f16 v38, v38, v116
	v_pack_b32_f16 v39, v39, v120
	ds_store_b32 v40, v108 offset:972
	ds_store_2addr_b32 v34, v36, v37 offset0:8 offset1:251
	ds_store_2addr_b32 v35, v38, v39 offset1:243
	s_and_saveexec_b32 s2, vcc_lo
	s_cbranch_execz .LBB0_25
; %bb.24:
	s_wait_alu 0xfffe
	v_add_co_u32 v36, s0, s0, v40
	s_wait_alu 0xf1ff
	v_add_co_ci_u32_e64 v37, null, s1, 0, s0
	s_clause 0x2
	global_load_b32 v38, v[36:37], off offset:1944
	global_load_b32 v39, v[36:37], off offset:4536
	;; [unrolled: 1-line block ×3, first 2 shown]
	ds_load_b32 v37, v40 offset:1944
	ds_load_b32 v104, v40 offset:4536
	;; [unrolled: 1-line block ×3, first 2 shown]
	s_wait_dscnt 0x2
	v_lshrrev_b32_e32 v106, 16, v37
	s_wait_dscnt 0x1
	v_lshrrev_b32_e32 v108, 16, v104
	;; [unrolled: 2-line block ×3, first 2 shown]
	s_wait_loadcnt 0x2
	v_lshrrev_b32_e32 v107, 16, v38
	s_wait_loadcnt 0x1
	v_lshrrev_b32_e32 v109, 16, v39
	;; [unrolled: 2-line block ×3, first 2 shown]
	v_mul_f16_e32 v112, v106, v107
	v_mul_f16_e32 v107, v37, v107
	;; [unrolled: 1-line block ×6, first 2 shown]
	v_fma_f16 v37, v37, v38, -v112
	v_fmac_f16_e32 v107, v106, v38
	v_fma_f16 v38, v104, v39, -v113
	v_fmac_f16_e32 v109, v108, v39
	;; [unrolled: 2-line block ×3, first 2 shown]
	v_pack_b32_f16 v36, v37, v107
	s_delay_alu instid0(VALU_DEP_4) | instskip(NEXT) | instid1(VALU_DEP_3)
	v_pack_b32_f16 v37, v38, v109
	v_pack_b32_f16 v38, v39, v111
	ds_store_b32 v40, v36 offset:1944
	ds_store_b32 v40, v37 offset:4536
	;; [unrolled: 1-line block ×3, first 2 shown]
.LBB0_25:
	s_wait_alu 0xfffe
	s_or_b32 exec_lo, exec_lo, s2
	global_wb scope:SCOPE_SE
	s_wait_dscnt 0x0
	s_barrier_signal -1
	s_barrier_wait -1
	global_inv scope:SCOPE_SE
	ds_load_2addr_b32 v[36:37], v40 offset1:243
	ds_load_2addr_b32 v[38:39], v34 offset0:8 offset1:251
	ds_load_2addr_b32 v[34:35], v35 offset1:243
	s_and_saveexec_b32 s0, vcc_lo
	s_cbranch_execz .LBB0_27
; %bb.26:
	ds_load_b32 v99, v40 offset:1944
	ds_load_b32 v102, v40 offset:4536
	;; [unrolled: 1-line block ×3, first 2 shown]
	s_wait_dscnt 0x2
	v_lshrrev_b32_e32 v101, 16, v99
	s_wait_dscnt 0x1
	v_lshrrev_b32_e32 v103, 16, v102
	;; [unrolled: 2-line block ×3, first 2 shown]
.LBB0_27:
	s_wait_alu 0xfffe
	s_or_b32 exec_lo, exec_lo, s0
	v_add_f16_e32 v104, v98, v102
	s_delay_alu instid0(VALU_DEP_2)
	v_add_f16_e32 v107, v100, v103
	v_add_f16_e32 v108, v102, v99
	s_wait_dscnt 0x1
	v_pk_add_f16 v105, v36, v38
	v_pk_add_f16 v106, v37, v39
	v_fmac_f16_e32 v99, -0.5, v104
	v_sub_f16_e32 v104, v103, v100
	v_add_f16_e32 v103, v103, v101
	v_fmac_f16_e32 v101, -0.5, v107
	v_sub_f16_e32 v107, v102, v98
	v_add_f16_e32 v98, v98, v108
	v_fmamk_f16 v102, v104, 0xbaee, v99
	v_fmac_f16_e32 v99, 0x3aee, v104
	s_wait_dscnt 0x0
	v_pk_add_f16 v104, v38, v34
	v_pk_add_f16 v38, v38, v34 neg_lo:[0,1] neg_hi:[0,1]
	v_add_f16_e32 v100, v100, v103
	v_fmamk_f16 v103, v107, 0x3aee, v101
	v_fmac_f16_e32 v101, 0xbaee, v107
	v_pk_add_f16 v107, v39, v35
	v_pk_add_f16 v39, v39, v35 neg_lo:[0,1] neg_hi:[0,1]
	v_pk_fma_f16 v36, v104, 0.5, v36 op_sel_hi:[1,0,1] neg_lo:[1,0,0] neg_hi:[1,0,0]
	v_pk_mul_f16 v38, 0x3aee, v38 op_sel_hi:[0,1]
	v_pk_add_f16 v34, v105, v34
	v_pk_fma_f16 v37, v107, 0.5, v37 op_sel_hi:[1,0,1] neg_lo:[1,0,0] neg_hi:[1,0,0]
	v_pk_mul_f16 v39, 0x3aee, v39 op_sel_hi:[0,1]
	v_pk_add_f16 v35, v106, v35
	v_pk_add_f16 v104, v36, v38 op_sel:[0,1] op_sel_hi:[1,0] neg_lo:[0,1] neg_hi:[0,1]
	v_pk_add_f16 v36, v36, v38 op_sel:[0,1] op_sel_hi:[1,0]
	global_wb scope:SCOPE_SE
	v_pk_add_f16 v38, v37, v39 op_sel:[0,1] op_sel_hi:[1,0] neg_lo:[0,1] neg_hi:[0,1]
	v_pk_add_f16 v37, v37, v39 op_sel:[0,1] op_sel_hi:[1,0]
	s_barrier_signal -1
	v_bfi_b32 v39, 0xffff, v104, v36
	v_bfi_b32 v36, 0xffff, v36, v104
	s_barrier_wait -1
	v_bfi_b32 v104, 0xffff, v38, v37
	v_bfi_b32 v37, 0xffff, v37, v38
	global_inv scope:SCOPE_SE
	ds_store_2addr_b32 v54, v34, v39 offset1:1
	ds_store_b32 v54, v36 offset:8
	ds_store_2addr_b32 v56, v35, v104 offset1:1
	ds_store_b32 v56, v37 offset:8
	s_and_saveexec_b32 s0, vcc_lo
	s_cbranch_execz .LBB0_29
; %bb.28:
	v_lshlrev_b32_e32 v34, 2, v55
	v_perm_b32 v35, v103, v102, 0x5040100
	v_perm_b32 v36, v100, v98, 0x5040100
	;; [unrolled: 1-line block ×3, first 2 shown]
	ds_store_2addr_b32 v34, v36, v35 offset1:1
	ds_store_b32 v34, v37 offset:8
.LBB0_29:
	s_wait_alu 0xfffe
	s_or_b32 exec_lo, exec_lo, s0
	v_add_nc_u32_e32 v36, 0xa00, v40
	v_add_nc_u32_e32 v37, 0x1440, v40
	global_wb scope:SCOPE_SE
	s_wait_dscnt 0x0
	s_barrier_signal -1
	s_barrier_wait -1
	global_inv scope:SCOPE_SE
	ds_load_2addr_b32 v[34:35], v40 offset1:243
	ds_load_2addr_b32 v[38:39], v36 offset0:8 offset1:251
	ds_load_2addr_b32 v[36:37], v37 offset1:243
	s_and_saveexec_b32 s0, vcc_lo
	s_cbranch_execz .LBB0_31
; %bb.30:
	ds_load_b32 v98, v40 offset:1944
	ds_load_b32 v102, v40 offset:4536
	;; [unrolled: 1-line block ×3, first 2 shown]
	s_wait_dscnt 0x2
	v_lshrrev_b32_e32 v100, 16, v98
	s_wait_dscnt 0x1
	v_lshrrev_b32_e32 v103, 16, v102
	;; [unrolled: 2-line block ×3, first 2 shown]
.LBB0_31:
	s_wait_alu 0xfffe
	s_or_b32 exec_lo, exec_lo, s0
	s_wait_dscnt 0x1
	v_lshrrev_b32_e32 v54, 16, v38
	s_wait_dscnt 0x0
	v_lshrrev_b32_e32 v56, 16, v36
	v_lshrrev_b32_e32 v105, 16, v39
	;; [unrolled: 1-line block ×4, first 2 shown]
	v_mul_f16_e32 v106, v68, v54
	v_mul_f16_e32 v68, v68, v38
	;; [unrolled: 1-line block ×4, first 2 shown]
	v_lshrrev_b32_e32 v104, 16, v35
	v_fmac_f16_e32 v106, v14, v38
	v_mul_f16_e32 v38, v66, v105
	v_fma_f16 v14, v14, v54, -v68
	v_fmac_f16_e32 v108, v15, v36
	v_mul_f16_e32 v36, v66, v39
	v_mul_f16_e32 v54, v65, v107
	v_fmac_f16_e32 v38, v12, v39
	v_mul_f16_e32 v39, v65, v37
	v_fma_f16 v15, v15, v56, -v67
	v_fma_f16 v12, v12, v105, -v36
	v_mul_f16_e32 v36, v64, v103
	v_fmac_f16_e32 v54, v13, v37
	v_mul_f16_e32 v37, v64, v102
	v_fma_f16 v13, v13, v107, -v39
	v_mul_f16_e32 v39, v63, v101
	v_mul_f16_e32 v56, v63, v99
	v_fmac_f16_e32 v36, v10, v102
	v_fma_f16 v10, v10, v103, -v37
	v_add_f16_e32 v37, v106, v108
	v_fmac_f16_e32 v39, v11, v99
	v_fma_f16 v11, v11, v101, -v56
	v_add_f16_e32 v56, v14, v15
	v_add_f16_e32 v63, v34, v106
	v_fma_f16 v64, -0.5, v37, v34
	v_sub_f16_e32 v34, v14, v15
	v_add_f16_e32 v14, v55, v14
	v_fmac_f16_e32 v55, -0.5, v56
	v_sub_f16_e32 v37, v106, v108
	v_add_f16_e32 v63, v63, v108
	v_fmamk_f16 v56, v34, 0xbaee, v64
	v_fmac_f16_e32 v64, 0x3aee, v34
	v_add_f16_e32 v14, v14, v15
	v_add_f16_e32 v15, v38, v54
	v_fmamk_f16 v65, v37, 0x3aee, v55
	v_add_f16_e32 v34, v35, v38
	v_fmac_f16_e32 v55, 0xbaee, v37
	v_add_f16_e32 v37, v12, v13
	v_fmac_f16_e32 v35, -0.5, v15
	v_sub_f16_e32 v15, v12, v13
	v_add_f16_e32 v66, v34, v54
	v_add_f16_e32 v12, v104, v12
	v_fmac_f16_e32 v104, -0.5, v37
	v_sub_f16_e32 v34, v38, v54
	v_fmamk_f16 v54, v15, 0xbaee, v35
	v_fmac_f16_e32 v35, 0x3aee, v15
	v_add_f16_e32 v12, v12, v13
	v_add_f16_e32 v13, v39, v36
	v_fmamk_f16 v15, v34, 0x3aee, v104
	v_fmac_f16_e32 v104, 0xbaee, v34
	v_add_f16_e32 v34, v11, v10
	v_add_f16_e32 v37, v98, v36
	v_fmac_f16_e32 v98, -0.5, v13
	v_sub_f16_e32 v13, v10, v11
	v_add_f16_e32 v10, v10, v100
	v_fmac_f16_e32 v100, -0.5, v34
	v_sub_f16_e32 v67, v36, v39
	v_add_f16_e32 v34, v39, v37
	v_fmamk_f16 v37, v13, 0xbaee, v98
	v_fmac_f16_e32 v98, 0x3aee, v13
	v_add_f16_e32 v36, v11, v10
	v_fmamk_f16 v38, v67, 0x3aee, v100
	v_fmac_f16_e32 v100, 0xbaee, v67
	v_pack_b32_f16 v10, v63, v14
	v_pack_b32_f16 v11, v56, v65
	;; [unrolled: 1-line block ×6, first 2 shown]
	global_wb scope:SCOPE_SE
	s_barrier_signal -1
	s_barrier_wait -1
	global_inv scope:SCOPE_SE
	ds_store_2addr_b32 v59, v10, v11 offset1:3
	ds_store_b32 v59, v13 offset:24
	ds_store_2addr_b32 v58, v12, v14 offset1:3
	ds_store_b32 v58, v15 offset:24
	s_and_saveexec_b32 s0, vcc_lo
	s_cbranch_execz .LBB0_33
; %bb.32:
	v_and_b32_e32 v10, 0xffff, v57
	v_perm_b32 v11, v36, v34, 0x5040100
	v_perm_b32 v12, v38, v37, 0x5040100
	;; [unrolled: 1-line block ×3, first 2 shown]
	s_delay_alu instid0(VALU_DEP_4)
	v_lshlrev_b32_e32 v10, 2, v10
	ds_store_2addr_b32 v10, v11, v12 offset1:3
	ds_store_b32 v10, v13 offset:24
.LBB0_33:
	s_wait_alu 0xfffe
	s_or_b32 exec_lo, exec_lo, s0
	v_add_nc_u32_e32 v12, 0xa00, v40
	v_add_nc_u32_e32 v13, 0x1440, v40
	global_wb scope:SCOPE_SE
	s_wait_dscnt 0x0
	s_barrier_signal -1
	s_barrier_wait -1
	global_inv scope:SCOPE_SE
	ds_load_2addr_b32 v[10:11], v40 offset1:243
	ds_load_2addr_b32 v[14:15], v12 offset0:8 offset1:251
	ds_load_2addr_b32 v[12:13], v13 offset1:243
	s_and_saveexec_b32 s0, vcc_lo
	s_cbranch_execz .LBB0_35
; %bb.34:
	ds_load_b32 v34, v40 offset:1944
	ds_load_b32 v37, v40 offset:4536
	;; [unrolled: 1-line block ×3, first 2 shown]
	s_wait_dscnt 0x2
	v_lshrrev_b32_e32 v36, 16, v34
	s_wait_dscnt 0x1
	v_lshrrev_b32_e32 v38, 16, v37
	;; [unrolled: 2-line block ×3, first 2 shown]
.LBB0_35:
	s_wait_alu 0xfffe
	s_or_b32 exec_lo, exec_lo, s0
	s_wait_dscnt 0x1
	v_lshrrev_b32_e32 v35, 16, v14
	s_wait_dscnt 0x0
	v_lshrrev_b32_e32 v54, 16, v12
	v_lshrrev_b32_e32 v56, 16, v15
	v_mul_f16_e32 v58, v77, v14
	v_lshrrev_b32_e32 v59, 16, v13
	v_mul_f16_e32 v57, v77, v35
	v_mul_f16_e32 v63, v76, v54
	;; [unrolled: 1-line block ×3, first 2 shown]
	v_lshrrev_b32_e32 v39, 16, v10
	v_lshrrev_b32_e32 v55, 16, v11
	v_fmac_f16_e32 v57, v20, v14
	v_fma_f16 v14, v20, v35, -v58
	v_mul_f16_e32 v20, v75, v56
	v_fmac_f16_e32 v63, v21, v12
	v_mul_f16_e32 v12, v75, v15
	v_mul_f16_e32 v35, v74, v59
	v_fma_f16 v21, v21, v54, -v64
	v_fmac_f16_e32 v20, v18, v15
	v_mul_f16_e32 v15, v74, v13
	v_fma_f16 v12, v18, v56, -v12
	v_mul_f16_e32 v18, v72, v38
	v_fmac_f16_e32 v35, v19, v13
	v_mul_f16_e32 v13, v72, v37
	v_fma_f16 v15, v19, v59, -v15
	v_mul_f16_e32 v19, v71, v100
	v_fmac_f16_e32 v18, v16, v37
	v_mul_f16_e32 v37, v71, v98
	v_fma_f16 v13, v16, v38, -v13
	v_add_f16_e32 v16, v57, v63
	v_fmac_f16_e32 v19, v17, v98
	v_add_f16_e32 v38, v10, v57
	v_fma_f16 v17, v17, v100, -v37
	v_add_f16_e32 v37, v14, v21
	v_fma_f16 v10, -0.5, v16, v10
	v_sub_f16_e32 v16, v14, v21
	v_add_f16_e32 v14, v39, v14
	v_add_f16_e32 v56, v11, v20
	v_fmac_f16_e32 v39, -0.5, v37
	v_sub_f16_e32 v37, v57, v63
	v_fmamk_f16 v54, v16, 0xbaee, v10
	v_fmac_f16_e32 v10, 0x3aee, v16
	v_add_f16_e32 v16, v20, v35
	v_add_f16_e32 v14, v14, v21
	v_fmamk_f16 v21, v37, 0x3aee, v39
	v_fmac_f16_e32 v39, 0xbaee, v37
	v_add_f16_e32 v37, v12, v15
	v_fmac_f16_e32 v11, -0.5, v16
	v_sub_f16_e32 v16, v12, v15
	v_add_f16_e32 v12, v55, v12
	v_add_f16_e32 v56, v56, v35
	v_fmac_f16_e32 v55, -0.5, v37
	v_sub_f16_e32 v20, v20, v35
	v_fmamk_f16 v35, v16, 0xbaee, v11
	v_fmac_f16_e32 v11, 0x3aee, v16
	v_add_f16_e32 v12, v12, v15
	v_add_f16_e32 v15, v19, v18
	;; [unrolled: 1-line block ×4, first 2 shown]
	v_fmamk_f16 v37, v20, 0x3aee, v55
	v_fmac_f16_e32 v55, 0xbaee, v20
	v_add_f16_e32 v20, v34, v18
	v_fmac_f16_e32 v34, -0.5, v15
	v_sub_f16_e32 v15, v13, v17
	v_add_f16_e32 v13, v13, v36
	v_fmac_f16_e32 v36, -0.5, v16
	v_sub_f16_e32 v57, v18, v19
	v_add_f16_e32 v16, v19, v20
	v_fmamk_f16 v19, v15, 0xbaee, v34
	v_fmac_f16_e32 v34, 0x3aee, v15
	v_add_f16_e32 v17, v17, v13
	v_fmamk_f16 v18, v57, 0x3aee, v36
	v_fmac_f16_e32 v36, 0xbaee, v57
	v_pack_b32_f16 v13, v38, v14
	v_pack_b32_f16 v14, v54, v21
	;; [unrolled: 1-line block ×6, first 2 shown]
	global_wb scope:SCOPE_SE
	s_barrier_signal -1
	s_barrier_wait -1
	global_inv scope:SCOPE_SE
	ds_store_2addr_b32 v62, v13, v14 offset1:9
	ds_store_b32 v62, v10 offset:72
	ds_store_2addr_b32 v61, v12, v15 offset1:9
	ds_store_b32 v61, v11 offset:72
	s_and_saveexec_b32 s0, vcc_lo
	s_cbranch_execz .LBB0_37
; %bb.36:
	v_and_b32_e32 v10, 0xffff, v60
	v_perm_b32 v11, v17, v16, 0x5040100
	v_perm_b32 v12, v18, v19, 0x5040100
	;; [unrolled: 1-line block ×3, first 2 shown]
	s_delay_alu instid0(VALU_DEP_4)
	v_lshlrev_b32_e32 v10, 2, v10
	ds_store_2addr_b32 v10, v11, v12 offset1:9
	ds_store_b32 v10, v13 offset:72
.LBB0_37:
	s_wait_alu 0xfffe
	s_or_b32 exec_lo, exec_lo, s0
	v_add_nc_u32_e32 v12, 0xa00, v40
	v_add_nc_u32_e32 v13, 0x1440, v40
	global_wb scope:SCOPE_SE
	s_wait_dscnt 0x0
	s_barrier_signal -1
	s_barrier_wait -1
	global_inv scope:SCOPE_SE
	ds_load_2addr_b32 v[10:11], v40 offset1:243
	ds_load_2addr_b32 v[14:15], v12 offset0:8 offset1:251
	ds_load_2addr_b32 v[12:13], v13 offset1:243
	s_and_saveexec_b32 s0, vcc_lo
	s_cbranch_execz .LBB0_39
; %bb.38:
	ds_load_b32 v16, v40 offset:1944
	ds_load_b32 v19, v40 offset:4536
	;; [unrolled: 1-line block ×3, first 2 shown]
	s_wait_dscnt 0x2
	v_lshrrev_b32_e32 v17, 16, v16
	s_wait_dscnt 0x1
	v_lshrrev_b32_e32 v18, 16, v19
	s_wait_dscnt 0x0
	v_lshrrev_b32_e32 v36, 16, v34
.LBB0_39:
	s_wait_alu 0xfffe
	s_or_b32 exec_lo, exec_lo, s0
	s_wait_dscnt 0x1
	v_lshrrev_b32_e32 v20, 16, v14
	s_wait_dscnt 0x0
	v_lshrrev_b32_e32 v21, 16, v12
	v_lshrrev_b32_e32 v38, 16, v15
	v_mul_f16_e32 v57, v81, v12
	v_lshrrev_b32_e32 v54, 16, v13
	v_mul_f16_e32 v39, v80, v20
	v_mul_f16_e32 v56, v81, v21
	;; [unrolled: 1-line block ×4, first 2 shown]
	v_lshrrev_b32_e32 v35, 16, v10
	v_fmac_f16_e32 v39, v26, v14
	v_fmac_f16_e32 v56, v27, v12
	v_fma_f16 v12, v27, v21, -v57
	v_mul_f16_e32 v21, v84, v15
	v_mul_f16_e32 v14, v82, v18
	v_fma_f16 v20, v26, v20, -v55
	v_fmac_f16_e32 v58, v24, v15
	v_mul_f16_e32 v26, v83, v54
	v_mul_f16_e32 v15, v83, v13
	v_fma_f16 v21, v24, v38, -v21
	v_mul_f16_e32 v24, v82, v19
	v_fmac_f16_e32 v14, v22, v19
	v_add_f16_e32 v19, v39, v56
	v_fmac_f16_e32 v26, v25, v13
	v_fma_f16 v25, v25, v54, -v15
	v_fma_f16 v15, v22, v18, -v24
	v_add_f16_e32 v22, v10, v39
	v_fma_f16 v24, -0.5, v19, v10
	v_sub_f16_e32 v10, v20, v12
	v_mul_f16_e32 v13, v79, v36
	v_mul_f16_e32 v18, v79, v34
	v_add_f16_e32 v19, v20, v12
	v_add_f16_e32 v20, v35, v20
	v_fmamk_f16 v27, v10, 0xbaee, v24
	v_fmac_f16_e32 v24, 0x3aee, v10
	v_add_f16_e32 v10, v58, v26
	v_lshrrev_b32_e32 v37, 16, v11
	v_fmac_f16_e32 v13, v23, v34
	v_fma_f16 v18, v23, v36, -v18
	v_add_f16_e32 v23, v22, v56
	v_add_f16_e32 v22, v11, v58
	v_fmac_f16_e32 v11, -0.5, v10
	v_sub_f16_e32 v10, v21, v25
	v_add_f16_e32 v34, v20, v12
	v_add_f16_e32 v12, v21, v25
	v_fmac_f16_e32 v35, -0.5, v19
	v_sub_f16_e32 v19, v39, v56
	v_fmamk_f16 v39, v10, 0xbaee, v11
	v_fmac_f16_e32 v11, 0x3aee, v10
	v_add_f16_e32 v10, v13, v14
	v_add_f16_e32 v20, v18, v15
	;; [unrolled: 1-line block ×3, first 2 shown]
	v_fmac_f16_e32 v37, -0.5, v12
	v_sub_f16_e32 v12, v58, v26
	v_fmamk_f16 v36, v19, 0x3aee, v35
	v_fmac_f16_e32 v35, 0xbaee, v19
	v_add_f16_e32 v38, v22, v26
	v_fma_f16 v19, -0.5, v10, v16
	v_sub_f16_e32 v21, v15, v18
	v_fma_f16 v20, -0.5, v20, v17
	v_sub_f16_e32 v22, v14, v13
	v_add_f16_e32 v25, v54, v25
	v_fmamk_f16 v26, v12, 0x3aee, v37
	v_fmac_f16_e32 v37, 0xbaee, v12
	v_fmamk_f16 v10, v21, 0x3aee, v19
	v_fmamk_f16 v12, v22, 0xbaee, v20
	v_pack_b32_f16 v23, v23, v34
	v_pack_b32_f16 v27, v27, v36
	;; [unrolled: 1-line block ×6, first 2 shown]
	global_wb scope:SCOPE_SE
	s_barrier_signal -1
	s_barrier_wait -1
	global_inv scope:SCOPE_SE
	ds_store_2addr_b32 v70, v23, v27 offset1:27
	ds_store_b32 v70, v24 offset:216
	ds_store_2addr_b32 v73, v25, v26 offset1:27
	ds_store_b32 v73, v11 offset:216
	s_and_saveexec_b32 s0, vcc_lo
	s_cbranch_execz .LBB0_41
; %bb.40:
	v_mul_f16_e32 v11, 0x3aee, v22
	v_add_f16_e32 v15, v15, v17
	v_add_f16_e32 v14, v16, v14
	v_mul_f16_e32 v16, 0x3aee, v21
	v_and_b32_e32 v17, 0xffff, v69
	v_add_f16_e32 v11, v11, v20
	v_add_f16_e32 v15, v18, v15
	v_add_f16_e32 v13, v13, v14
	v_sub_f16_e32 v14, v19, v16
	v_lshlrev_b32_e32 v16, 2, v17
	s_delay_alu instid0(VALU_DEP_3) | instskip(NEXT) | instid1(VALU_DEP_3)
	v_pack_b32_f16 v13, v13, v15
	v_pack_b32_f16 v11, v14, v11
	v_perm_b32 v14, v12, v10, 0x5040100
	ds_store_2addr_b32 v16, v13, v11 offset1:27
	ds_store_b32 v16, v14 offset:216
.LBB0_41:
	s_wait_alu 0xfffe
	s_or_b32 exec_lo, exec_lo, s0
	global_wb scope:SCOPE_SE
	s_wait_dscnt 0x0
	s_barrier_signal -1
	s_barrier_wait -1
	global_inv scope:SCOPE_SE
	ds_load_2addr_b32 v[13:14], v40 offset1:243
	v_add_nc_u32_e32 v11, 0x780, v40
	v_add_nc_u32_e32 v17, 0xf00, v40
	;; [unrolled: 1-line block ×3, first 2 shown]
	ds_load_2addr_b32 v[15:16], v11 offset0:6 offset1:249
	ds_load_2addr_b32 v[17:18], v17 offset0:12 offset1:255
	;; [unrolled: 1-line block ×3, first 2 shown]
	global_wb scope:SCOPE_SE
	s_wait_dscnt 0x0
	s_barrier_signal -1
	s_barrier_wait -1
	global_inv scope:SCOPE_SE
	v_lshrrev_b32_e32 v21, 16, v14
	v_mul_f16_e32 v22, v97, v14
	v_lshrrev_b32_e32 v11, 16, v13
	v_lshrrev_b32_e32 v23, 16, v15
	;; [unrolled: 1-line block ×5, first 2 shown]
	v_mul_f16_e32 v35, v97, v21
	v_fma_f16 v21, v0, v21, -v22
	v_mul_f16_e32 v22, v94, v15
	v_mul_f16_e32 v36, v92, v16
	;; [unrolled: 1-line block ×4, first 2 shown]
	v_fmac_f16_e32 v35, v0, v14
	v_mul_f16_e32 v0, v94, v23
	v_fma_f16 v14, v1, v23, -v22
	v_mul_f16_e32 v22, v92, v24
	v_mul_f16_e32 v23, v93, v25
	v_fma_f16 v24, v2, v24, -v36
	v_mul_f16_e32 v36, v90, v26
	v_lshrrev_b32_e32 v27, 16, v19
	v_lshrrev_b32_e32 v34, 16, v20
	v_fmac_f16_e32 v0, v1, v15
	v_fmac_f16_e32 v23, v3, v17
	v_fma_f16 v1, v3, v25, -v37
	v_fmac_f16_e32 v36, v4, v18
	v_fma_f16 v3, v4, v26, -v38
	v_mul_f16_e32 v4, v88, v19
	v_fmac_f16_e32 v22, v2, v16
	v_mul_f16_e32 v2, v88, v27
	v_mul_f16_e32 v15, v87, v34
	;; [unrolled: 1-line block ×3, first 2 shown]
	v_fma_f16 v4, v5, v27, -v4
	v_sub_f16_e32 v17, v13, v23
	v_fmac_f16_e32 v2, v5, v19
	v_fmac_f16_e32 v15, v6, v20
	v_fma_f16 v5, v6, v34, -v16
	v_sub_f16_e32 v1, v11, v1
	v_sub_f16_e32 v4, v14, v4
	v_fma_f16 v6, v13, 2.0, -v17
	v_sub_f16_e32 v2, v0, v2
	v_sub_f16_e32 v13, v35, v36
	v_fma_f16 v11, v11, 2.0, -v1
	v_sub_f16_e32 v3, v21, v3
	v_fma_f16 v14, v14, 2.0, -v4
	v_sub_f16_e32 v15, v22, v15
	v_sub_f16_e32 v5, v24, v5
	v_fma_f16 v0, v0, 2.0, -v2
	v_fma_f16 v16, v35, 2.0, -v13
	;; [unrolled: 1-line block ×3, first 2 shown]
	v_sub_f16_e32 v19, v11, v14
	v_fma_f16 v14, v22, 2.0, -v15
	v_fma_f16 v20, v24, 2.0, -v5
	v_sub_f16_e32 v2, v1, v2
	v_sub_f16_e32 v15, v3, v15
	v_add_f16_e32 v4, v17, v4
	v_add_f16_e32 v5, v13, v5
	v_sub_f16_e32 v0, v6, v0
	v_sub_f16_e32 v21, v16, v14
	;; [unrolled: 1-line block ×3, first 2 shown]
	v_fma_f16 v1, v1, 2.0, -v2
	v_fma_f16 v3, v3, 2.0, -v15
	;; [unrolled: 1-line block ×8, first 2 shown]
	v_fmamk_f16 v23, v3, 0xb9a8, v1
	v_fmamk_f16 v22, v13, 0xb9a8, v17
	s_delay_alu instid0(VALU_DEP_4) | instskip(NEXT) | instid1(VALU_DEP_4)
	v_sub_f16_e32 v18, v6, v14
	v_sub_f16_e32 v16, v11, v16
	s_delay_alu instid0(VALU_DEP_4)
	v_fmac_f16_e32 v23, 0xb9a8, v13
	v_fmamk_f16 v13, v5, 0x39a8, v4
	v_fmamk_f16 v14, v15, 0x39a8, v2
	v_fmac_f16_e32 v22, 0x39a8, v3
	v_fma_f16 v24, v6, 2.0, -v18
	v_fma_f16 v3, v11, 2.0, -v16
	v_add_f16_e32 v6, v0, v20
	v_sub_f16_e32 v11, v19, v21
	v_fmac_f16_e32 v13, 0x39a8, v15
	v_fmac_f16_e32 v14, 0xb9a8, v5
	v_fma_f16 v17, v17, 2.0, -v22
	v_fma_f16 v1, v1, 2.0, -v23
	;; [unrolled: 1-line block ×6, first 2 shown]
	v_pack_b32_f16 v3, v24, v3
	v_pack_b32_f16 v1, v17, v1
	;; [unrolled: 1-line block ×6, first 2 shown]
	v_add_nc_u32_e32 v15, 0x400, v78
	v_pack_b32_f16 v16, v6, v11
	v_pack_b32_f16 v17, v13, v14
	v_add_nc_u32_e32 v18, 0x600, v78
	ds_store_2addr_b32 v78, v3, v1 offset1:81
	ds_store_2addr_b32 v78, v0, v2 offset0:162 offset1:243
	ds_store_2addr_b32 v15, v4, v5 offset0:68 offset1:149
	ds_store_2addr_b32 v18, v16, v17 offset0:102 offset1:183
	v_add_nc_u32_e32 v2, 0xa00, v40
	v_add_nc_u32_e32 v3, 0x1440, v40
	global_wb scope:SCOPE_SE
	s_wait_dscnt 0x0
	s_barrier_signal -1
	s_barrier_wait -1
	global_inv scope:SCOPE_SE
	ds_load_2addr_b32 v[0:1], v40 offset1:243
	ds_load_2addr_b32 v[4:5], v2 offset0:8 offset1:251
	ds_load_2addr_b32 v[2:3], v3 offset1:243
	s_and_saveexec_b32 s0, vcc_lo
	s_cbranch_execz .LBB0_43
; %bb.42:
	ds_load_b32 v6, v40 offset:1944
	ds_load_b32 v13, v40 offset:4536
	;; [unrolled: 1-line block ×3, first 2 shown]
	s_wait_dscnt 0x2
	v_lshrrev_b32_e32 v11, 16, v6
	s_wait_dscnt 0x1
	v_lshrrev_b32_e32 v14, 16, v13
	;; [unrolled: 2-line block ×3, first 2 shown]
.LBB0_43:
	s_wait_alu 0xfffe
	s_or_b32 exec_lo, exec_lo, s0
	s_wait_dscnt 0x1
	v_lshrrev_b32_e32 v15, 16, v4
	s_wait_dscnt 0x0
	v_lshrrev_b32_e32 v17, 16, v2
	v_lshrrev_b32_e32 v19, 16, v5
	v_mul_f16_e32 v21, v96, v4
	v_mul_f16_e32 v24, v95, v2
	;; [unrolled: 1-line block ×4, first 2 shown]
	v_lshrrev_b32_e32 v22, 16, v3
	v_lshrrev_b32_e32 v16, 16, v0
	v_fma_f16 v17, v33, v17, -v24
	v_fmac_f16_e32 v20, v32, v4
	v_fma_f16 v4, v32, v15, -v21
	v_mul_f16_e32 v15, v91, v19
	v_fmac_f16_e32 v23, v33, v2
	v_mul_f16_e32 v2, v91, v5
	v_mul_f16_e32 v21, v89, v22
	v_lshrrev_b32_e32 v18, 16, v1
	v_fmac_f16_e32 v15, v30, v5
	v_mul_f16_e32 v5, v89, v3
	v_fma_f16 v2, v30, v19, -v2
	v_add_f16_e32 v19, v20, v23
	v_fmac_f16_e32 v21, v31, v3
	v_add_f16_e32 v3, v0, v20
	v_fma_f16 v5, v31, v22, -v5
	v_add_f16_e32 v22, v4, v17
	v_fma_f16 v0, -0.5, v19, v0
	v_sub_f16_e32 v19, v4, v17
	v_add_f16_e32 v4, v16, v4
	v_sub_f16_e32 v20, v20, v23
	v_fmac_f16_e32 v16, -0.5, v22
	v_add_f16_e32 v3, v3, v23
	v_fmamk_f16 v22, v19, 0xbaee, v0
	v_add_f16_e32 v4, v4, v17
	v_add_f16_e32 v17, v15, v21
	v_fmac_f16_e32 v0, 0x3aee, v19
	v_fmamk_f16 v19, v20, 0x3aee, v16
	v_fmac_f16_e32 v16, 0xbaee, v20
	v_add_f16_e32 v20, v2, v5
	v_add_f16_e32 v23, v1, v15
	v_fmac_f16_e32 v1, -0.5, v17
	v_sub_f16_e32 v17, v2, v5
	v_add_f16_e32 v2, v18, v2
	v_fmac_f16_e32 v18, -0.5, v20
	v_sub_f16_e32 v15, v15, v21
	v_add_f16_e32 v20, v23, v21
	v_fmamk_f16 v21, v17, 0xbaee, v1
	v_add_f16_e32 v2, v2, v5
	v_fmac_f16_e32 v1, 0x3aee, v17
	v_fmamk_f16 v5, v15, 0x3aee, v18
	v_fmac_f16_e32 v18, 0xbaee, v15
	v_pack_b32_f16 v3, v3, v4
	v_pack_b32_f16 v4, v22, v19
	;; [unrolled: 1-line block ×6, first 2 shown]
	ds_store_b32 v40, v4 offset:2592
	ds_store_b32 v40, v0 offset:5184
	ds_store_2addr_b32 v40, v3, v2 offset1:243
	ds_store_b32 v40, v5 offset:3564
	ds_store_b32 v40, v1 offset:6156
	s_and_saveexec_b32 s0, vcc_lo
	s_cbranch_execz .LBB0_45
; %bb.44:
	v_mul_f16_e32 v0, v86, v14
	v_mul_f16_e32 v1, v85, v12
	v_mul_f16_e32 v2, v86, v13
	v_mul_f16_e32 v3, v85, v10
	s_delay_alu instid0(VALU_DEP_4) | instskip(NEXT) | instid1(VALU_DEP_4)
	v_fmac_f16_e32 v0, v28, v13
	v_fmac_f16_e32 v1, v29, v10
	s_delay_alu instid0(VALU_DEP_4) | instskip(NEXT) | instid1(VALU_DEP_4)
	v_fma_f16 v2, v28, v14, -v2
	v_fma_f16 v3, v29, v12, -v3
	s_delay_alu instid0(VALU_DEP_3) | instskip(SKIP_1) | instid1(VALU_DEP_3)
	v_add_f16_e32 v10, v1, v0
	v_sub_f16_e32 v4, v0, v1
	v_add_f16_e32 v5, v3, v2
	v_sub_f16_e32 v12, v2, v3
	v_add_f16_e32 v2, v2, v11
	v_add_f16_e32 v0, v6, v0
	v_fma_f16 v6, -0.5, v10, v6
	v_fma_f16 v5, -0.5, v5, v11
	s_delay_alu instid0(VALU_DEP_4) | instskip(NEXT) | instid1(VALU_DEP_4)
	v_add_f16_e32 v2, v3, v2
	v_add_f16_e32 v0, v1, v0
	s_delay_alu instid0(VALU_DEP_4) | instskip(NEXT) | instid1(VALU_DEP_4)
	v_fmamk_f16 v3, v12, 0xbaee, v6
	v_fmamk_f16 v1, v4, 0x3aee, v5
	v_fmac_f16_e32 v5, 0xbaee, v4
	v_fmac_f16_e32 v6, 0x3aee, v12
	v_pack_b32_f16 v0, v0, v2
	s_delay_alu instid0(VALU_DEP_4) | instskip(NEXT) | instid1(VALU_DEP_3)
	v_pack_b32_f16 v1, v3, v1
	v_pack_b32_f16 v2, v6, v5
	ds_store_b32 v40, v0 offset:1944
	ds_store_b32 v40, v1 offset:4536
	;; [unrolled: 1-line block ×3, first 2 shown]
.LBB0_45:
	s_wait_alu 0xfffe
	s_or_b32 exec_lo, exec_lo, s0
	global_wb scope:SCOPE_SE
	s_wait_dscnt 0x0
	s_barrier_signal -1
	s_barrier_wait -1
	global_inv scope:SCOPE_SE
	ds_load_2addr_b32 v[4:5], v40 offset1:243
	v_add_nc_u32_e32 v0, 0xa00, v40
	s_mov_b32 s6, 0xa88f4696
	s_mov_b32 s7, 0x3f40db20
	v_mad_co_u64_u32 v[22:23], null, s8, v47, 0
	ds_load_2addr_b32 v[2:3], v0 offset0:8 offset1:251
	v_add_nc_u32_e32 v0, 0x1440, v40
	ds_load_2addr_b32 v[0:1], v0 offset1:243
	s_wait_dscnt 0x2
	v_lshrrev_b32_e32 v6, 16, v4
	v_mul_f16_e32 v10, v53, v4
	s_delay_alu instid0(VALU_DEP_2) | instskip(NEXT) | instid1(VALU_DEP_2)
	v_mul_f16_e32 v11, v53, v6
	v_fma_f16 v6, v49, v6, -v10
	s_wait_dscnt 0x1
	v_mul_f16_e32 v12, v52, v2
	s_delay_alu instid0(VALU_DEP_3) | instskip(NEXT) | instid1(VALU_DEP_3)
	v_fmac_f16_e32 v11, v49, v4
	v_cvt_f32_f16_e32 v4, v6
	v_lshrrev_b32_e32 v6, 16, v2
	s_wait_dscnt 0x0
	v_lshrrev_b32_e32 v20, 16, v0
	v_cvt_f32_f16_e32 v13, v11
	v_cvt_f64_f32_e32 v[10:11], v4
	v_fma_f16 v4, v51, v6, -v12
	v_mul_f16_e32 v6, v52, v6
	v_mul_f16_e32 v16, v50, v20
	v_cvt_f64_f32_e32 v[12:13], v13
	s_delay_alu instid0(VALU_DEP_4) | instskip(NEXT) | instid1(VALU_DEP_4)
	v_cvt_f32_f16_e32 v4, v4
	v_fmac_f16_e32 v6, v51, v2
	s_delay_alu instid0(VALU_DEP_4) | instskip(SKIP_1) | instid1(VALU_DEP_4)
	v_fmac_f16_e32 v16, v48, v0
	v_mul_f16_e32 v0, v50, v0
	v_cvt_f64_f32_e32 v[14:15], v4
	s_delay_alu instid0(VALU_DEP_4) | instskip(NEXT) | instid1(VALU_DEP_4)
	v_cvt_f32_f16_e32 v2, v6
	v_cvt_f32_f16_e32 v4, v16
	s_delay_alu instid0(VALU_DEP_4) | instskip(SKIP_1) | instid1(VALU_DEP_4)
	v_fma_f16 v0, v48, v20, -v0
	v_mad_co_u64_u32 v[20:21], null, s10, v9, 0
	v_cvt_f64_f32_e32 v[16:17], v2
	s_delay_alu instid0(VALU_DEP_4) | instskip(NEXT) | instid1(VALU_DEP_4)
	v_cvt_f64_f32_e32 v[18:19], v4
	v_cvt_f32_f16_e32 v0, v0
	v_mov_b32_e32 v2, v23
	s_delay_alu instid0(VALU_DEP_2) | instskip(SKIP_1) | instid1(VALU_DEP_1)
	v_cvt_f64_f32_e32 v[24:25], v0
	v_mov_b32_e32 v0, v21
	v_mad_co_u64_u32 v[26:27], null, s11, v9, v[0:1]
	s_delay_alu instid0(VALU_DEP_4) | instskip(SKIP_3) | instid1(VALU_DEP_4)
	v_mad_co_u64_u32 v[27:28], null, s9, v47, v[2:3]
	v_lshrrev_b32_e32 v0, 16, v5
	s_wait_alu 0xfffe
	v_mul_f64_e32 v[10:11], s[6:7], v[10:11]
	v_mov_b32_e32 v21, v26
	s_delay_alu instid0(VALU_DEP_3) | instskip(SKIP_2) | instid1(VALU_DEP_4)
	v_mul_f16_e32 v2, v46, v0
	v_mov_b32_e32 v23, v27
	v_mul_f64_e32 v[12:13], s[6:7], v[12:13]
	v_lshlrev_b64_e32 v[20:21], 2, v[20:21]
	s_delay_alu instid0(VALU_DEP_4) | instskip(NEXT) | instid1(VALU_DEP_4)
	v_fmac_f16_e32 v2, v45, v5
	v_lshlrev_b64_e32 v[22:23], 2, v[22:23]
	v_mul_f64_e32 v[14:15], s[6:7], v[14:15]
	s_delay_alu instid0(VALU_DEP_4)
	v_add_co_u32 v4, s0, s4, v20
	s_wait_alu 0xf1ff
	v_add_co_ci_u32_e64 v6, s0, s5, v21, s0
	v_cvt_f32_f16_e32 v2, v2
	v_mul_f64_e32 v[16:17], s[6:7], v[16:17]
	v_mul_f64_e32 v[18:19], s[6:7], v[18:19]
	v_add_co_u32 v20, s0, v4, v22
	s_wait_alu 0xf1ff
	v_add_co_ci_u32_e64 v21, s0, v6, v23, s0
	v_cvt_f64_f32_e32 v[22:23], v2
	v_mul_f64_e32 v[24:25], s[6:7], v[24:25]
	v_and_or_b32 v2, 0x1ff, v11, v10
	v_lshrrev_b32_e32 v4, 8, v11
	v_bfe_u32 v6, v11, 20, 11
	v_lshrrev_b32_e32 v9, 16, v11
	v_and_or_b32 v10, 0x1ff, v13, v12
	v_cmp_ne_u32_e64 s0, 0, v2
	v_bfe_u32 v12, v13, 20, 11
	v_lshrrev_b32_e32 v11, 8, v13
	v_sub_nc_u32_e32 v26, 0x3f1, v6
	v_add_nc_u32_e32 v6, 0xfffffc10, v6
	s_wait_alu 0xf1ff
	v_cndmask_b32_e64 v2, 0, 1, s0
	v_and_or_b32 v14, 0x1ff, v15, v14
	v_cmp_ne_u32_e64 s0, 0, v10
	v_sub_nc_u32_e32 v29, 0x3f1, v12
	v_lshrrev_b32_e32 v27, 8, v15
	v_and_or_b32 v2, 0xffe, v4, v2
	v_med3_i32 v4, v26, 0, 13
	s_wait_alu 0xf1ff
	v_cndmask_b32_e64 v10, 0, 1, s0
	v_cmp_ne_u32_e64 s0, 0, v14
	v_and_or_b32 v16, 0x1ff, v17, v16
	v_and_or_b32 v18, 0x1ff, v19, v18
	v_lshl_or_b32 v34, v6, 12, v2
	v_and_or_b32 v10, 0xffe, v11, v10
	s_wait_alu 0xf1ff
	v_cndmask_b32_e64 v14, 0, 1, s0
	v_cmp_ne_u32_e64 s0, 0, v2
	v_med3_i32 v11, v29, 0, 13
	v_or_b32_e32 v29, 0x1000, v2
	v_bfe_u32 v28, v15, 20, 11
	v_bfe_u32 v30, v17, 20, 11
	s_wait_alu 0xf1ff
	v_cndmask_b32_e64 v2, 0, 1, s0
	v_cmp_ne_u32_e64 s0, 0, v16
	v_lshrrev_b32_e32 v32, 8, v19
	v_or_b32_e32 v36, 0x1000, v10
	v_lshrrev_b32_e32 v38, v4, v29
	v_add_nc_u32_e32 v12, 0xfffffc10, v12
	s_wait_alu 0xf1ff
	v_cndmask_b32_e64 v16, 0, 1, s0
	v_cmp_ne_u32_e64 s0, 0, v18
	v_lshrrev_b32_e32 v26, 8, v17
	v_sub_nc_u32_e32 v31, 0x3f1, v28
	v_sub_nc_u32_e32 v35, 0x3f1, v30
	v_and_or_b32 v14, 0xffe, v27, v14
	s_wait_alu 0xf1ff
	v_cndmask_b32_e64 v18, 0, 1, s0
	v_cmp_ne_u32_e64 s0, 0, v10
	v_lshlrev_b32_e32 v4, v4, v38
	v_med3_i32 v27, v31, 0, 13
	v_lshl_or_b32 v37, v12, 12, v10
	v_and_or_b32 v18, 0xffe, v32, v18
	v_lshrrev_b32_e32 v32, v11, v36
	s_wait_alu 0xf1ff
	v_cndmask_b32_e64 v10, 0, 1, s0
	v_and_or_b32 v16, 0xffe, v26, v16
	v_med3_i32 v26, v35, 0, 13
	v_or_b32_e32 v35, 0x1000, v14
	v_lshlrev_b32_e32 v11, v11, v32
	v_cmp_ne_u32_e64 s0, v4, v29
	v_add_nc_u32_e32 v30, 0xfffffc10, v30
	v_or_b32_e32 v47, 0x1000, v16
	v_lshrrev_b32_e32 v49, v27, v35
	v_add_nc_u32_e32 v28, 0xfffffc10, v28
	s_wait_alu 0xf1ff
	v_cndmask_b32_e64 v4, 0, 1, s0
	v_cmp_ne_u32_e64 s0, v11, v36
	v_lshl_or_b32 v48, v30, 12, v16
	v_lshlrev_b32_e32 v27, v27, v49
	v_lshrrev_b32_e32 v29, v26, v47
	v_or_b32_e32 v4, v38, v4
	s_wait_alu 0xf1ff
	v_cndmask_b32_e64 v11, 0, 1, s0
	v_cmp_ne_u32_e64 s0, 0, v16
	v_lshl_or_b32 v39, v28, 12, v14
	v_lshlrev_b32_e32 v26, v26, v29
	v_cmp_gt_i32_e64 s4, 1, v30
	v_or_b32_e32 v11, v32, v11
	s_wait_alu 0xf1ff
	v_cndmask_b32_e64 v16, 0, 1, s0
	v_cmp_ne_u32_e64 s0, v27, v35
	v_lshl_or_b32 v10, v10, 9, 0x7c00
	v_lshrrev_b32_e32 v13, 16, v13
	v_lshl_or_b32 v2, v2, 9, 0x7c00
	v_bfe_u32 v33, v19, 20, 11
	s_wait_alu 0xf1ff
	v_cndmask_b32_e64 v27, 0, 1, s0
	v_cmp_gt_i32_e64 s0, 1, v6
	s_delay_alu instid0(VALU_DEP_3) | instskip(NEXT) | instid1(VALU_DEP_3)
	v_sub_nc_u32_e32 v31, 0x3f1, v33
	v_or_b32_e32 v27, v49, v27
	s_wait_alu 0xf1ff
	s_delay_alu instid0(VALU_DEP_3) | instskip(SKIP_1) | instid1(VALU_DEP_2)
	v_cndmask_b32_e64 v4, v34, v4, s0
	v_cmp_gt_i32_e64 s0, 1, v12
	v_and_b32_e32 v32, 7, v4
	s_wait_alu 0xf1ff
	s_delay_alu instid0(VALU_DEP_2) | instskip(SKIP_3) | instid1(VALU_DEP_4)
	v_cndmask_b32_e64 v11, v37, v11, s0
	v_cmp_ne_u32_e64 s0, v26, v47
	v_lshrrev_b32_e32 v4, 2, v4
	v_cmp_lt_i32_e64 s2, 5, v32
	v_and_b32_e32 v34, 7, v11
	s_wait_alu 0xf1ff
	v_cndmask_b32_e64 v26, 0, 1, s0
	v_cmp_gt_i32_e64 s0, 1, v28
	v_lshrrev_b32_e32 v11, 2, v11
	v_cmp_eq_u32_e64 s3, 3, v32
	v_cmp_eq_u32_e64 s1, 3, v34
	v_or_b32_e32 v26, v29, v26
	s_wait_alu 0xf1ff
	v_cndmask_b32_e64 v27, v39, v27, s0
	v_cmp_lt_i32_e64 s0, 5, v34
	s_delay_alu instid0(VALU_DEP_3) | instskip(NEXT) | instid1(VALU_DEP_2)
	v_cndmask_b32_e64 v26, v48, v26, s4
	s_or_b32 s0, s1, s0
	v_cmp_eq_u32_e64 s1, 0x40f, v12
	s_wait_alu 0xfffe
	v_add_co_ci_u32_e64 v11, s0, 0, v11, s0
	s_or_b32 s0, s3, s2
	v_and_b32_e32 v29, 7, v26
	s_wait_alu 0xfffe
	v_add_co_ci_u32_e64 v4, s0, 0, v4, s0
	v_cmp_gt_i32_e64 s0, 31, v12
	v_cmp_eq_u32_e64 s2, 0x40f, v6
	v_lshrrev_b32_e32 v12, 16, v17
	s_wait_alu 0xf1ff
	s_delay_alu instid0(VALU_DEP_3) | instskip(SKIP_1) | instid1(VALU_DEP_2)
	v_cndmask_b32_e64 v11, 0x7c00, v11, s0
	v_cmp_gt_i32_e64 s0, 31, v6
	v_cndmask_b32_e64 v10, v11, v10, s1
	s_wait_alu 0xf1ff
	s_delay_alu instid0(VALU_DEP_2) | instskip(SKIP_3) | instid1(VALU_DEP_4)
	v_cndmask_b32_e64 v4, 0x7c00, v4, s0
	v_cmp_lt_i32_e64 s0, 5, v29
	v_cmp_eq_u32_e64 s1, 3, v29
	v_lshrrev_b32_e32 v11, 2, v26
	v_cndmask_b32_e64 v2, v4, v2, s2
	v_and_or_b32 v4, 0x8000, v13, v10
	s_delay_alu instid0(VALU_DEP_4)
	s_or_b32 s0, s1, s0
	v_lshl_or_b32 v10, v16, 9, 0x7c00
	s_wait_alu 0xfffe
	v_add_co_ci_u32_e64 v6, s0, 0, v11, s0
	v_and_or_b32 v2, 0x8000, v9, v2
	v_and_b32_e32 v4, 0xffff, v4
	v_and_b32_e32 v9, 7, v27
	v_cmp_gt_i32_e64 s0, 31, v30
	v_cmp_eq_u32_e64 s2, 0x40f, v30
	v_lshrrev_b32_e32 v13, 16, v15
	v_lshl_or_b32 v2, v2, 16, v4
	v_cmp_eq_u32_e64 s1, 3, v9
	s_wait_alu 0xf1ff
	v_cndmask_b32_e64 v6, 0x7c00, v6, s0
	v_cmp_lt_i32_e64 s0, 5, v9
	v_med3_i32 v9, v31, 0, 13
	global_store_b32 v[20:21], v2, off
	v_lshrrev_b32_e32 v2, 2, v27
	v_cndmask_b32_e64 v4, v6, v10, s2
	s_or_b32 s0, s1, s0
	v_or_b32_e32 v6, 0x1000, v18
	v_lshrrev_b32_e32 v16, 8, v25
	s_wait_alu 0xfffe
	v_add_co_ci_u32_e64 v2, s0, 0, v2, s0
	v_cmp_ne_u32_e64 s0, 0, v14
	v_lshrrev_b32_e32 v11, v9, v6
	v_and_or_b32 v12, 0x8000, v12, v4
	v_mul_f16_e32 v4, v46, v5
	s_wait_alu 0xf1ff
	v_cndmask_b32_e64 v10, 0, 1, s0
	v_cmp_gt_i32_e64 s0, 31, v28
	v_lshlrev_b32_e32 v9, v9, v11
	v_fma_f16 v0, v45, v0, -v4
	v_and_or_b32 v4, 0x1ff, v25, v24
	v_lshl_or_b32 v10, v10, 9, 0x7c00
	s_wait_alu 0xf1ff
	v_cndmask_b32_e64 v2, 0x7c00, v2, s0
	v_cmp_eq_u32_e64 s0, 0x40f, v28
	v_cvt_f32_f16_e32 v0, v0
	v_and_b32_e32 v12, 0xffff, v12
	s_wait_alu 0xf1ff
	s_delay_alu instid0(VALU_DEP_3)
	v_cndmask_b32_e64 v2, v2, v10, s0
	v_cmp_ne_u32_e64 s0, v9, v6
	v_add_nc_u32_e32 v6, 0xfffffc10, v33
	v_cvt_f64_f32_e32 v[9:10], v0
	v_bfe_u32 v0, v25, 20, 11
	v_and_or_b32 v2, 0x8000, v13, v2
	s_wait_alu 0xf1ff
	v_cndmask_b32_e64 v5, 0, 1, s0
	v_cmp_ne_u32_e64 s0, 0, v4
	v_lshl_or_b32 v14, v6, 12, v18
	s_delay_alu instid0(VALU_DEP_3)
	v_or_b32_e32 v11, v11, v5
	v_mul_f64_e32 v[4:5], s[6:7], v[22:23]
	s_wait_alu 0xf1ff
	v_cndmask_b32_e64 v15, 0, 1, s0
	v_cmp_gt_i32_e64 s0, 1, v6
	v_lshl_or_b32 v22, v2, 16, v12
	v_lshrrev_b32_e32 v23, 16, v3
	s_delay_alu instid0(VALU_DEP_4)
	v_and_or_b32 v15, 0xffe, v16, v15
	s_wait_alu 0xf1ff
	v_cndmask_b32_e64 v13, v14, v11, s0
	v_sub_nc_u32_e32 v11, 0x3f1, v0
	s_mul_u64 s[0:1], s[8:9], 0x288
	v_add_nc_u32_e32 v0, 0xfffffc10, v0
	v_or_b32_e32 v16, 0x1000, v15
	v_and_b32_e32 v14, 7, v13
	v_med3_i32 v17, v11, 0, 13
	s_wait_alu 0xfffe
	s_lshl_b64 s[12:13], s[0:1], 2
	v_lshrrev_b32_e32 v13, 2, v13
	s_wait_alu 0xfffe
	v_add_co_u32 v11, s2, v20, s12
	v_lshrrev_b32_e32 v2, v17, v16
	v_cmp_lt_i32_e64 s0, 5, v14
	v_cmp_eq_u32_e64 s1, 3, v14
	s_wait_alu 0xf1ff
	v_add_co_ci_u32_e64 v12, s2, s13, v21, s2
	v_lshlrev_b32_e32 v14, v17, v2
	v_mul_f16_e32 v17, v44, v23
	s_or_b32 s0, s1, s0
	v_cmp_eq_u32_e64 s2, 0x40f, v6
	s_wait_alu 0xfffe
	v_add_co_ci_u32_e64 v20, s0, 0, v13, s0
	v_cmp_ne_u32_e64 s0, v14, v16
	v_fmac_f16_e32 v17, v43, v3
	v_mul_f64_e32 v[9:10], s[6:7], v[9:10]
	v_mul_f16_e32 v3, v44, v3
	s_wait_alu 0xf1ff
	v_cndmask_b32_e64 v13, 0, 1, s0
	v_cmp_ne_u32_e64 s0, 0, v18
	v_cvt_f32_f16_e32 v14, v17
	v_fma_f16 v3, v43, v23, -v3
	v_and_or_b32 v4, 0x1ff, v5, v4
	v_or_b32_e32 v2, v2, v13
	s_wait_alu 0xf1ff
	v_cndmask_b32_e64 v16, 0, 1, s0
	v_lshl_or_b32 v13, v0, 12, v15
	v_cmp_gt_i32_e64 s0, 1, v0
	v_lshrrev_b32_e32 v17, 8, v5
	v_bfe_u32 v18, v5, 20, 11
	v_lshl_or_b32 v16, v16, 9, 0x7c00
	v_cvt_f32_f16_e32 v3, v3
	s_wait_alu 0xf1ff
	v_cndmask_b32_e64 v2, v13, v2, s0
	v_cmp_ne_u32_e64 s0, 0, v4
	v_cvt_f64_f32_e32 v[13:14], v14
	v_lshrrev_b32_e32 v23, 16, v1
	s_delay_alu instid0(VALU_DEP_4)
	v_and_b32_e32 v21, 7, v2
	s_wait_alu 0xf1ff
	v_cndmask_b32_e64 v4, 0, 1, s0
	v_cmp_gt_i32_e64 s0, 31, v6
	v_lshrrev_b32_e32 v2, 2, v2
	v_cmp_eq_u32_e64 s1, 3, v21
	s_delay_alu instid0(VALU_DEP_4)
	v_and_or_b32 v4, 0xffe, v17, v4
	v_sub_nc_u32_e32 v17, 0x3f1, v18
	s_wait_alu 0xf1ff
	v_cndmask_b32_e64 v20, 0x7c00, v20, s0
	v_cmp_lt_i32_e64 s0, 5, v21
	v_or_b32_e32 v21, 0x1000, v4
	v_med3_i32 v17, v17, 0, 13
	s_delay_alu instid0(VALU_DEP_4) | instskip(NEXT) | instid1(VALU_DEP_4)
	v_cndmask_b32_e64 v6, v20, v16, s2
	s_or_b32 s0, s1, s0
	v_lshrrev_b32_e32 v16, 16, v19
	s_wait_alu 0xfffe
	v_add_co_ci_u32_e64 v2, s0, 0, v2, s0
	v_lshrrev_b32_e32 v19, v17, v21
	v_cmp_ne_u32_e64 s0, 0, v15
	v_and_or_b32 v6, 0x8000, v16, v6
	s_delay_alu instid0(VALU_DEP_3) | instskip(SKIP_1) | instid1(VALU_DEP_3)
	v_lshlrev_b32_e32 v17, v17, v19
	s_wait_alu 0xf1ff
	v_cndmask_b32_e64 v15, 0, 1, s0
	v_cmp_gt_i32_e64 s0, 31, v0
	v_and_b32_e32 v6, 0xffff, v6
	s_delay_alu instid0(VALU_DEP_3) | instskip(SKIP_1) | instid1(VALU_DEP_3)
	v_lshl_or_b32 v15, v15, 9, 0x7c00
	s_wait_alu 0xf1ff
	v_cndmask_b32_e64 v2, 0x7c00, v2, s0
	v_cmp_ne_u32_e64 s0, v17, v21
	v_add_nc_u32_e32 v17, 0xfffffc10, v18
	v_bfe_u32 v18, v10, 20, 11
	v_mul_f64_e32 v[13:14], s[6:7], v[13:14]
	s_wait_alu 0xf1ff
	v_cndmask_b32_e64 v16, 0, 1, s0
	v_cmp_eq_u32_e64 s0, 0x40f, v0
	v_cmp_eq_u32_e64 s2, 0x40f, v17
	s_wait_alu 0xf1ff
	s_delay_alu instid0(VALU_DEP_2) | instskip(SKIP_4) | instid1(VALU_DEP_4)
	v_cndmask_b32_e64 v0, v2, v15, s0
	v_and_or_b32 v2, 0x1ff, v10, v9
	v_or_b32_e32 v9, v19, v16
	v_lshrrev_b32_e32 v16, 8, v10
	v_lshl_or_b32 v15, v17, 12, v4
	v_cmp_ne_u32_e64 s0, 0, v2
	s_wait_alu 0xf1ff
	s_delay_alu instid0(VALU_DEP_1) | instskip(SKIP_1) | instid1(VALU_DEP_2)
	v_cndmask_b32_e64 v2, 0, 1, s0
	v_cmp_gt_i32_e64 s0, 1, v17
	v_and_or_b32 v19, 0xffe, v16, v2
	v_sub_nc_u32_e32 v2, 0x3f1, v18
	s_wait_alu 0xf1ff
	s_delay_alu instid0(VALU_DEP_3)
	v_cndmask_b32_e64 v9, v15, v9, s0
	v_lshrrev_b32_e32 v15, 16, v25
	v_add_nc_u32_e32 v18, 0xfffffc10, v18
	v_or_b32_e32 v20, 0x1000, v19
	v_med3_i32 v21, v2, 0, 13
	v_and_b32_e32 v16, 7, v9
	v_and_or_b32 v0, 0x8000, v15, v0
	v_cvt_f64_f32_e32 v[2:3], v3
	s_delay_alu instid0(VALU_DEP_4) | instskip(NEXT) | instid1(VALU_DEP_4)
	v_lshrrev_b32_e32 v15, v21, v20
	v_cmp_lt_i32_e64 s0, 5, v16
	v_cmp_eq_u32_e64 s1, 3, v16
	v_lshl_or_b32 v6, v0, 16, v6
	v_lshrrev_b32_e32 v0, 2, v9
	v_lshlrev_b32_e32 v9, v21, v15
	v_mul_f16_e32 v16, v42, v23
	s_or_b32 s0, s1, s0
	v_lshl_or_b32 v21, v18, 12, v19
	s_wait_alu 0xfffe
	v_add_co_ci_u32_e64 v0, s0, 0, v0, s0
	v_cmp_ne_u32_e64 s0, v9, v20
	v_fmac_f16_e32 v16, v41, v1
	v_and_or_b32 v13, 0x1ff, v14, v13
	v_mul_f16_e32 v1, v42, v1
	s_wait_alu 0xf1ff
	v_cndmask_b32_e64 v9, 0, 1, s0
	v_cmp_gt_i32_e64 s0, 31, v17
	s_delay_alu instid0(VALU_DEP_3) | instskip(SKIP_1) | instid1(VALU_DEP_2)
	v_fma_f16 v23, v41, v23, -v1
	s_wait_alu 0xf1ff
	v_cndmask_b32_e64 v20, 0x7c00, v0, s0
	v_cmp_ne_u32_e64 s0, 0, v4
	v_or_b32_e32 v0, v15, v9
	v_cvt_f32_f16_e32 v9, v16
	s_wait_alu 0xf1ff
	s_delay_alu instid0(VALU_DEP_3) | instskip(SKIP_1) | instid1(VALU_DEP_3)
	v_cndmask_b32_e64 v4, 0, 1, s0
	v_cmp_gt_i32_e64 s0, 1, v18
	v_cvt_f64_f32_e32 v[15:16], v9
	s_delay_alu instid0(VALU_DEP_3) | instskip(SKIP_1) | instid1(VALU_DEP_3)
	v_lshl_or_b32 v4, v4, 9, 0x7c00
	s_wait_alu 0xf1ff
	v_cndmask_b32_e64 v9, v21, v0, s0
	v_cmp_ne_u32_e64 s0, 0, v13
	v_lshrrev_b32_e32 v13, 8, v14
	v_bfe_u32 v21, v14, 20, 11
	v_cndmask_b32_e64 v17, v20, v4, s2
	v_and_b32_e32 v24, 7, v9
	s_wait_alu 0xf1ff
	v_cndmask_b32_e64 v0, 0, 1, s0
	v_lshrrev_b32_e32 v9, 2, v9
	v_sub_nc_u32_e32 v25, 0x3f1, v21
	v_lshrrev_b32_e32 v14, 16, v14
	v_cmp_lt_i32_e64 s0, 5, v24
	v_and_or_b32 v13, 0xffe, v13, v0
	v_cmp_eq_u32_e64 s1, 3, v24
	v_mul_f64_e32 v[0:1], s[6:7], v[2:3]
	v_cvt_f32_f16_e32 v2, v23
	v_med3_i32 v24, v25, 0, 13
	v_or_b32_e32 v23, 0x1000, v13
	s_or_b32 s0, s1, s0
	s_movk_i32 s2, 0xfbe3
	s_wait_alu 0xfffe
	v_add_co_ci_u32_e64 v4, s0, 0, v9, s0
	v_lshrrev_b32_e32 v20, v24, v23
	v_cmp_ne_u32_e64 s0, 0, v19
	v_cvt_f64_f32_e32 v[2:3], v2
	s_mov_b32 s3, -1
	s_delay_alu instid0(VALU_DEP_3)
	v_lshlrev_b32_e32 v19, v24, v20
	s_wait_alu 0xf1ff
	v_cndmask_b32_e64 v9, 0, 1, s0
	v_cmp_gt_i32_e64 s0, 31, v18
	v_lshrrev_b32_e32 v24, 16, v5
	s_wait_alu 0xfffe
	s_mul_u64 s[2:3], s[8:9], s[2:3]
	v_lshl_or_b32 v5, v9, 9, 0x7c00
	v_cndmask_b32_e64 v4, 0x7c00, v4, s0
	v_cmp_ne_u32_e64 s0, v19, v23
	v_add_nc_u32_e32 v19, 0xfffffc10, v21
	v_and_or_b32 v17, 0x8000, v24, v17
	s_wait_alu 0xfffe
	s_lshl_b64 s[4:5], s[2:3], 2
	v_cndmask_b32_e64 v9, 0, 1, s0
	v_cmp_eq_u32_e64 s0, 0x40f, v18
	v_and_b32_e32 v17, 0xffff, v17
	s_wait_alu 0xf1ff
	s_delay_alu instid0(VALU_DEP_2)
	v_cndmask_b32_e64 v18, v4, v5, s0
	v_mul_f64_e32 v[4:5], s[6:7], v[15:16]
	v_or_b32_e32 v16, v20, v9
	v_add_co_u32 v9, s0, v11, s12
	v_lshrrev_b32_e32 v15, 16, v10
	s_wait_alu 0xf1ff
	v_add_co_ci_u32_e64 v10, s0, s13, v12, s0
	v_lshl_or_b32 v20, v19, 12, v13
	v_cmp_gt_i32_e64 s0, 1, v19
	v_and_or_b32 v0, 0x1ff, v1, v0
	v_and_or_b32 v15, 0x8000, v15, v18
	v_bfe_u32 v21, v1, 20, 11
	s_wait_alu 0xf1ff
	v_cndmask_b32_e64 v16, v20, v16, s0
	v_cmp_ne_u32_e64 s0, 0, v0
	v_lshrrev_b32_e32 v20, 8, v1
	v_mul_f64_e32 v[2:3], s[6:7], v[2:3]
	v_lshl_or_b32 v15, v15, 16, v17
	v_and_b32_e32 v18, 7, v16
	s_wait_alu 0xf1ff
	v_cndmask_b32_e64 v0, 0, 1, s0
	v_lshrrev_b32_e32 v16, 2, v16
	v_sub_nc_u32_e32 v17, 0x3f1, v21
	v_lshrrev_b32_e32 v1, 16, v1
	v_cmp_lt_i32_e64 s0, 5, v18
	v_cmp_eq_u32_e64 s1, 3, v18
	v_and_or_b32 v0, 0xffe, v20, v0
	v_med3_i32 v17, v17, 0, 13
	s_delay_alu instid0(VALU_DEP_3) | instskip(NEXT) | instid1(VALU_DEP_2)
	s_or_b32 s0, s1, s0
	v_or_b32_e32 v18, 0x1000, v0
	s_wait_alu 0xfffe
	v_add_co_ci_u32_e64 v16, s0, 0, v16, s0
	v_cmp_ne_u32_e64 s0, 0, v13
	s_delay_alu instid0(VALU_DEP_3) | instskip(SKIP_1) | instid1(VALU_DEP_2)
	v_lshrrev_b32_e32 v20, v17, v18
	s_wait_alu 0xf1ff
	v_cndmask_b32_e64 v13, 0, 1, s0
	v_and_or_b32 v4, 0x1ff, v5, v4
	v_cmp_gt_i32_e64 s0, 31, v19
	v_lshlrev_b32_e32 v17, v17, v20
	v_lshrrev_b32_e32 v23, 8, v5
	v_bfe_u32 v24, v5, 20, 11
	v_lshl_or_b32 v13, v13, 9, 0x7c00
	s_wait_alu 0xf1ff
	v_cndmask_b32_e64 v16, 0x7c00, v16, s0
	v_cmp_ne_u32_e64 s0, 0, v4
	v_lshrrev_b32_e32 v5, 16, v5
	s_wait_alu 0xf1ff
	s_delay_alu instid0(VALU_DEP_2)
	v_cndmask_b32_e64 v4, 0, 1, s0
	v_cmp_ne_u32_e64 s0, v17, v18
	v_add_nc_u32_e32 v18, 0xfffffc10, v21
	v_sub_nc_u32_e32 v21, 0x3f1, v24
	v_and_or_b32 v2, 0x1ff, v3, v2
	v_and_or_b32 v4, 0xffe, v23, v4
	s_wait_alu 0xf1ff
	v_cndmask_b32_e64 v17, 0, 1, s0
	v_cmp_eq_u32_e64 s0, 0x40f, v19
	v_bfe_u32 v23, v3, 20, 11
	v_or_b32_e32 v19, 0x1000, v4
	s_wait_alu 0xf1ff
	s_delay_alu instid0(VALU_DEP_3)
	v_cndmask_b32_e64 v13, v16, v13, s0
	v_or_b32_e32 v16, v20, v17
	v_lshl_or_b32 v17, v18, 12, v0
	v_med3_i32 v20, v21, 0, 13
	v_cmp_gt_i32_e64 s0, 1, v18
	v_lshrrev_b32_e32 v21, 8, v3
	v_and_or_b32 v13, 0x8000, v14, v13
	v_sub_nc_u32_e32 v14, 0x3f1, v23
	s_wait_alu 0xf1ff
	v_cndmask_b32_e64 v16, v17, v16, s0
	v_lshrrev_b32_e32 v17, v20, v19
	v_cmp_ne_u32_e64 s0, 0, v2
	v_med3_i32 v14, v14, 0, 13
	s_delay_alu instid0(VALU_DEP_4) | instskip(NEXT) | instid1(VALU_DEP_4)
	v_and_b32_e32 v25, 7, v16
	v_lshlrev_b32_e32 v20, v20, v17
	s_wait_alu 0xf1ff
	v_cndmask_b32_e64 v2, 0, 1, s0
	v_lshrrev_b32_e32 v16, 2, v16
	v_cmp_lt_i32_e64 s0, 5, v25
	v_cmp_ne_u32_e64 s1, v20, v19
	s_delay_alu instid0(VALU_DEP_4) | instskip(SKIP_2) | instid1(VALU_DEP_3)
	v_and_or_b32 v2, 0xffe, v21, v2
	v_add_nc_u32_e32 v21, 0xfffffc10, v24
	s_wait_alu 0xf1ff
	v_cndmask_b32_e64 v19, 0, 1, s1
	v_cmp_eq_u32_e64 s1, 3, v25
	v_or_b32_e32 v20, 0x1000, v2
	v_lshl_or_b32 v24, v21, 12, v4
	s_delay_alu instid0(VALU_DEP_4) | instskip(NEXT) | instid1(VALU_DEP_4)
	v_or_b32_e32 v17, v17, v19
	s_or_b32 s0, s1, s0
	s_delay_alu instid0(VALU_DEP_3) | instskip(SKIP_3) | instid1(VALU_DEP_3)
	v_lshrrev_b32_e32 v19, v14, v20
	s_wait_alu 0xfffe
	v_add_co_ci_u32_e64 v16, s0, 0, v16, s0
	v_cmp_gt_i32_e64 s0, 1, v21
	v_lshlrev_b32_e32 v14, v14, v19
	s_wait_alu 0xf1ff
	s_delay_alu instid0(VALU_DEP_2) | instskip(SKIP_2) | instid1(VALU_DEP_1)
	v_cndmask_b32_e64 v17, v24, v17, s0
	v_cmp_ne_u32_e64 s0, 0, v0
	s_wait_alu 0xf1ff
	v_cndmask_b32_e64 v0, 0, 1, s0
	v_cmp_ne_u32_e64 s0, v14, v20
	v_add_nc_u32_e32 v20, 0xfffffc10, v23
	v_and_b32_e32 v23, 7, v17
	s_delay_alu instid0(VALU_DEP_4)
	v_lshl_or_b32 v0, v0, 9, 0x7c00
	s_wait_alu 0xf1ff
	v_cndmask_b32_e64 v14, 0, 1, s0
	v_cmp_gt_i32_e64 s0, 31, v18
	v_cmp_gt_i32_e64 s2, 1, v20
	v_cmp_eq_u32_e64 s1, 3, v23
	s_delay_alu instid0(VALU_DEP_4) | instskip(SKIP_4) | instid1(VALU_DEP_3)
	v_or_b32_e32 v14, v19, v14
	v_lshl_or_b32 v19, v20, 12, v2
	s_wait_alu 0xf1ff
	v_cndmask_b32_e64 v16, 0x7c00, v16, s0
	v_cmp_lt_i32_e64 s0, 5, v23
	v_cndmask_b32_e64 v14, v19, v14, s2
	v_cmp_eq_u32_e64 s2, 0x40f, v18
	s_delay_alu instid0(VALU_DEP_3) | instskip(NEXT) | instid1(VALU_DEP_1)
	s_or_b32 s0, s1, s0
	v_cndmask_b32_e64 v0, v16, v0, s2
	v_lshrrev_b32_e32 v16, 2, v17
	v_and_b32_e32 v17, 7, v14
	v_lshrrev_b32_e32 v14, 2, v14
	v_cmp_gt_i32_e64 s2, 31, v21
	v_and_or_b32 v0, 0x8000, v1, v0
	s_wait_alu 0xfffe
	v_add_co_ci_u32_e64 v16, s0, 0, v16, s0
	v_cmp_ne_u32_e64 s0, 0, v4
	v_cmp_eq_u32_e64 s1, 3, v17
	v_and_b32_e32 v1, 0xffff, v13
	s_wait_alu 0xf1ff
	v_cndmask_b32_e64 v16, 0x7c00, v16, s2
	v_lshrrev_b32_e32 v13, 16, v3
	v_cndmask_b32_e64 v4, 0, 1, s0
	v_cmp_lt_i32_e64 s0, 5, v17
	s_delay_alu instid0(VALU_DEP_2) | instskip(NEXT) | instid1(VALU_DEP_2)
	v_lshl_or_b32 v4, v4, 9, 0x7c00
	s_or_b32 s0, s1, s0
	s_wait_alu 0xfffe
	v_add_co_ci_u32_e64 v14, s0, 0, v14, s0
	v_cmp_ne_u32_e64 s0, 0, v2
	s_wait_alu 0xf1ff
	s_delay_alu instid0(VALU_DEP_1) | instskip(SKIP_1) | instid1(VALU_DEP_2)
	v_cndmask_b32_e64 v2, 0, 1, s0
	v_cmp_eq_u32_e64 s0, 0x40f, v21
	v_lshl_or_b32 v2, v2, 9, 0x7c00
	s_wait_alu 0xf1ff
	s_delay_alu instid0(VALU_DEP_2) | instskip(SKIP_1) | instid1(VALU_DEP_2)
	v_cndmask_b32_e64 v4, v16, v4, s0
	v_cmp_gt_i32_e64 s0, 31, v20
	v_and_or_b32 v4, 0x8000, v5, v4
	s_wait_alu 0xf1ff
	s_delay_alu instid0(VALU_DEP_2) | instskip(SKIP_2) | instid1(VALU_DEP_1)
	v_cndmask_b32_e64 v14, 0x7c00, v14, s0
	v_cmp_eq_u32_e64 s0, 0x40f, v20
	s_wait_alu 0xf1ff
	v_cndmask_b32_e64 v5, v14, v2, s0
	v_add_co_u32 v2, s0, v9, s4
	s_wait_alu 0xf1ff
	v_add_co_ci_u32_e64 v3, s0, s5, v10, s0
	v_lshl_or_b32 v14, v0, 16, v1
	v_and_or_b32 v0, 0x8000, v13, v5
	v_and_b32_e32 v1, 0xffff, v4
	v_add_co_u32 v4, s0, v2, s12
	s_wait_alu 0xf1ff
	v_add_co_ci_u32_e64 v5, s0, s13, v3, s0
	s_delay_alu instid0(VALU_DEP_3) | instskip(NEXT) | instid1(VALU_DEP_3)
	v_lshl_or_b32 v13, v0, 16, v1
	v_add_co_u32 v0, s0, v4, s12
	s_wait_alu 0xf1ff
	s_delay_alu instid0(VALU_DEP_3)
	v_add_co_ci_u32_e64 v1, s0, s13, v5, s0
	s_clause 0x3
	global_store_b32 v[11:12], v22, off
	global_store_b32 v[9:10], v6, off
	;; [unrolled: 1-line block ×5, first 2 shown]
	s_and_b32 exec_lo, exec_lo, vcc_lo
	s_cbranch_execz .LBB0_47
; %bb.46:
	s_clause 0x2
	global_load_b32 v2, v[7:8], off offset:1944
	global_load_b32 v4, v[7:8], off offset:4536
	global_load_b32 v8, v[7:8], off offset:7128
	ds_load_b32 v3, v40 offset:1944
	ds_load_b32 v5, v40 offset:4536
	;; [unrolled: 1-line block ×3, first 2 shown]
	v_add_co_u32 v0, vcc_lo, v0, s4
	s_wait_alu 0xfffd
	v_add_co_ci_u32_e32 v1, vcc_lo, s5, v1, vcc_lo
	s_wait_dscnt 0x2
	v_lshrrev_b32_e32 v7, 16, v3
	s_wait_dscnt 0x1
	v_lshrrev_b32_e32 v11, 16, v5
	;; [unrolled: 2-line block ×3, first 2 shown]
	s_wait_loadcnt 0x2
	v_lshrrev_b32_e32 v9, 16, v2
	s_wait_loadcnt 0x1
	v_lshrrev_b32_e32 v12, 16, v4
	s_delay_alu instid0(VALU_DEP_2) | instskip(SKIP_1) | instid1(VALU_DEP_3)
	v_mul_f16_e32 v10, v7, v9
	v_mul_f16_e32 v9, v3, v9
	;; [unrolled: 1-line block ×3, first 2 shown]
	s_delay_alu instid0(VALU_DEP_3) | instskip(NEXT) | instid1(VALU_DEP_3)
	v_fmac_f16_e32 v10, v3, v2
	v_fma_f16 v2, v2, v7, -v9
	s_wait_loadcnt 0x0
	v_lshrrev_b32_e32 v7, 16, v8
	v_mul_f16_e32 v9, v5, v12
	v_fmac_f16_e32 v14, v5, v4
	v_cvt_f32_f16_e32 v3, v10
	v_cvt_f32_f16_e32 v5, v2
	v_mul_f16_e32 v10, v13, v7
	v_fma_f16 v9, v4, v11, -v9
	v_cvt_f32_f16_e32 v11, v14
	v_cvt_f64_f32_e32 v[2:3], v3
	v_cvt_f64_f32_e32 v[4:5], v5
	v_mul_f16_e32 v12, v6, v7
	v_fmac_f16_e32 v10, v6, v8
	v_cvt_f32_f16_e32 v9, v9
	v_cvt_f64_f32_e32 v[6:7], v11
	v_add_co_u32 v14, vcc_lo, v0, s12
	v_fma_f16 v11, v8, v13, -v12
	v_cvt_f32_f16_e32 v10, v10
	v_cvt_f64_f32_e32 v[8:9], v9
	s_wait_alu 0xfffd
	v_add_co_ci_u32_e32 v15, vcc_lo, s13, v1, vcc_lo
	v_cvt_f32_f16_e32 v12, v11
	v_cvt_f64_f32_e32 v[10:11], v10
	s_delay_alu instid0(VALU_DEP_2)
	v_cvt_f64_f32_e32 v[12:13], v12
	v_mul_f64_e32 v[2:3], s[6:7], v[2:3]
	v_mul_f64_e32 v[4:5], s[6:7], v[4:5]
	;; [unrolled: 1-line block ×6, first 2 shown]
	v_and_or_b32 v2, 0x1ff, v3, v2
	v_and_or_b32 v4, 0x1ff, v5, v4
	v_lshrrev_b32_e32 v16, 8, v3
	v_bfe_u32 v17, v3, 20, 11
	v_lshrrev_b32_e32 v18, 8, v5
	v_cmp_ne_u32_e32 vcc_lo, 0, v2
	v_and_or_b32 v6, 0x1ff, v7, v6
	v_bfe_u32 v19, v5, 20, 11
	v_lshrrev_b32_e32 v20, 8, v7
	v_bfe_u32 v21, v7, 20, 11
	s_wait_alu 0xfffd
	v_cndmask_b32_e64 v2, 0, 1, vcc_lo
	v_cmp_ne_u32_e32 vcc_lo, 0, v4
	v_and_or_b32 v8, 0x1ff, v9, v8
	v_bfe_u32 v23, v9, 20, 11
	v_and_or_b32 v10, 0x1ff, v11, v10
	v_and_or_b32 v2, 0xffe, v16, v2
	s_wait_alu 0xfffd
	v_cndmask_b32_e64 v4, 0, 1, vcc_lo
	v_cmp_ne_u32_e32 vcc_lo, 0, v6
	v_and_or_b32 v12, 0x1ff, v13, v12
	v_sub_nc_u32_e32 v28, 0x3f1, v17
	v_add_nc_u32_e32 v17, 0xfffffc10, v17
	v_sub_nc_u32_e32 v29, 0x3f1, v19
	s_wait_alu 0xfffd
	v_cndmask_b32_e64 v6, 0, 1, vcc_lo
	v_cmp_ne_u32_e32 vcc_lo, 0, v8
	v_and_or_b32 v4, 0xffe, v18, v4
	v_lshrrev_b32_e32 v22, 8, v9
	v_bfe_u32 v25, v11, 20, 11
	v_bfe_u32 v27, v13, 20, 11
	s_wait_alu 0xfffd
	v_cndmask_b32_e64 v8, 0, 1, vcc_lo
	v_cmp_ne_u32_e32 vcc_lo, 0, v10
	v_add_nc_u32_e32 v19, 0xfffffc10, v19
	v_sub_nc_u32_e32 v30, 0x3f1, v21
	v_sub_nc_u32_e32 v31, 0x3f1, v23
	v_med3_i32 v16, v28, 0, 13
	s_wait_alu 0xfffd
	v_cndmask_b32_e64 v10, 0, 1, vcc_lo
	v_cmp_ne_u32_e32 vcc_lo, 0, v12
	v_med3_i32 v18, v29, 0, 13
	v_and_or_b32 v6, 0xffe, v20, v6
	v_or_b32_e32 v28, 0x1000, v2
	v_lshl_or_b32 v29, v17, 12, v2
	s_wait_alu 0xfffd
	v_cndmask_b32_e64 v12, 0, 1, vcc_lo
	v_cmp_ne_u32_e32 vcc_lo, 0, v2
	v_lshrrev_b32_e32 v24, 8, v11
	v_lshrrev_b32_e32 v26, 8, v13
	v_add_nc_u32_e32 v21, 0xfffffc10, v21
	v_sub_nc_u32_e32 v32, 0x3f1, v25
	s_wait_alu 0xfffd
	v_cndmask_b32_e64 v2, 0, 1, vcc_lo
	v_cmp_ne_u32_e32 vcc_lo, 0, v4
	v_sub_nc_u32_e32 v33, 0x3f1, v27
	v_med3_i32 v20, v30, 0, 13
	v_and_or_b32 v8, 0xffe, v22, v8
	v_med3_i32 v22, v31, 0, 13
	v_or_b32_e32 v30, 0x1000, v4
	v_lshl_or_b32 v31, v19, 12, v4
	s_wait_alu 0xfffd
	v_cndmask_b32_e64 v4, 0, 1, vcc_lo
	v_cmp_ne_u32_e32 vcc_lo, 0, v6
	v_add_nc_u32_e32 v23, 0xfffffc10, v23
	v_and_or_b32 v10, 0xffe, v24, v10
	v_med3_i32 v24, v32, 0, 13
	v_and_or_b32 v12, 0xffe, v26, v12
	v_med3_i32 v26, v33, 0, 13
	v_or_b32_e32 v32, 0x1000, v6
	v_lshl_or_b32 v33, v21, 12, v6
	s_wait_alu 0xfffd
	v_cndmask_b32_e64 v6, 0, 1, vcc_lo
	v_cmp_ne_u32_e32 vcc_lo, 0, v8
	v_add_nc_u32_e32 v25, 0xfffffc10, v25
	v_or_b32_e32 v34, 0x1000, v8
	v_lshl_or_b32 v35, v23, 12, v8
	v_lshrrev_b32_e32 v40, v16, v28
	s_wait_alu 0xfffd
	v_cndmask_b32_e64 v8, 0, 1, vcc_lo
	v_cmp_ne_u32_e32 vcc_lo, 0, v10
	v_add_nc_u32_e32 v27, 0xfffffc10, v27
	v_or_b32_e32 v36, 0x1000, v10
	v_lshl_or_b32 v37, v25, 12, v10
	v_lshrrev_b32_e32 v41, v18, v30
	s_wait_alu 0xfffd
	v_cndmask_b32_e64 v10, 0, 1, vcc_lo
	v_cmp_ne_u32_e32 vcc_lo, 0, v12
	v_lshlrev_b32_e32 v16, v16, v40
	v_or_b32_e32 v38, 0x1000, v12
	v_lshl_or_b32 v39, v27, 12, v12
	v_lshrrev_b32_e32 v42, v20, v32
	s_wait_alu 0xfffd
	v_cndmask_b32_e64 v12, 0, 1, vcc_lo
	v_lshlrev_b32_e32 v18, v18, v41
	v_cmp_ne_u32_e32 vcc_lo, v16, v28
	v_lshrrev_b32_e32 v43, v22, v34
	v_lshlrev_b32_e32 v20, v20, v42
	v_lshrrev_b32_e32 v44, v24, v36
	v_lshrrev_b32_e32 v45, v26, v38
	s_wait_alu 0xfffd
	v_cndmask_b32_e64 v16, 0, 1, vcc_lo
	v_cmp_ne_u32_e32 vcc_lo, v18, v30
	v_lshlrev_b32_e32 v22, v22, v43
	v_lshlrev_b32_e32 v24, v24, v44
	;; [unrolled: 1-line block ×3, first 2 shown]
	v_or_b32_e32 v16, v40, v16
	s_wait_alu 0xfffd
	v_cndmask_b32_e64 v18, 0, 1, vcc_lo
	v_cmp_ne_u32_e32 vcc_lo, v20, v32
	v_lshl_or_b32 v2, v2, 9, 0x7c00
	v_lshl_or_b32 v4, v4, 9, 0x7c00
	v_lshl_or_b32 v6, v6, 9, 0x7c00
	v_or_b32_e32 v18, v41, v18
	s_wait_alu 0xfffd
	v_cndmask_b32_e64 v20, 0, 1, vcc_lo
	v_cmp_ne_u32_e32 vcc_lo, v22, v34
	v_lshl_or_b32 v8, v8, 9, 0x7c00
	v_lshl_or_b32 v10, v10, 9, 0x7c00
	v_lshrrev_b32_e32 v3, 16, v3
	v_or_b32_e32 v20, v42, v20
	s_wait_alu 0xfffd
	v_cndmask_b32_e64 v22, 0, 1, vcc_lo
	v_cmp_ne_u32_e32 vcc_lo, v24, v36
	v_lshrrev_b32_e32 v7, 16, v7
	v_lshrrev_b32_e32 v5, 16, v5
	;; [unrolled: 1-line block ×3, first 2 shown]
	v_or_b32_e32 v22, v43, v22
	s_wait_alu 0xfffd
	v_cndmask_b32_e64 v24, 0, 1, vcc_lo
	v_cmp_ne_u32_e32 vcc_lo, v26, v38
	v_lshl_or_b32 v12, v12, 9, 0x7c00
	v_lshrrev_b32_e32 v9, 16, v9
	v_lshrrev_b32_e32 v13, 16, v13
	v_or_b32_e32 v24, v44, v24
	s_wait_alu 0xfffd
	v_cndmask_b32_e64 v26, 0, 1, vcc_lo
	v_cmp_gt_i32_e32 vcc_lo, 1, v17
	s_delay_alu instid0(VALU_DEP_2) | instskip(SKIP_3) | instid1(VALU_DEP_2)
	v_or_b32_e32 v26, v45, v26
	s_wait_alu 0xfffd
	v_cndmask_b32_e32 v16, v29, v16, vcc_lo
	v_cmp_gt_i32_e32 vcc_lo, 1, v19
	v_and_b32_e32 v28, 7, v16
	s_wait_alu 0xfffd
	v_cndmask_b32_e32 v18, v31, v18, vcc_lo
	v_cmp_gt_i32_e32 vcc_lo, 1, v21
	v_lshrrev_b32_e32 v16, 2, v16
	v_cmp_eq_u32_e64 s0, 3, v28
	s_wait_alu 0xfffd
	v_cndmask_b32_e32 v20, v33, v20, vcc_lo
	v_cmp_gt_i32_e32 vcc_lo, 1, v23
	s_delay_alu instid0(VALU_DEP_2)
	v_and_b32_e32 v30, 7, v20
	s_wait_alu 0xfffd
	v_cndmask_b32_e32 v22, v35, v22, vcc_lo
	v_cmp_gt_i32_e32 vcc_lo, 1, v25
	v_lshrrev_b32_e32 v20, 2, v20
	v_cmp_lt_i32_e64 s3, 5, v30
	v_cmp_eq_u32_e64 s4, 3, v30
	s_wait_alu 0xfffd
	v_cndmask_b32_e32 v24, v37, v24, vcc_lo
	v_cmp_gt_i32_e32 vcc_lo, 1, v27
	s_delay_alu instid0(VALU_DEP_2)
	v_and_b32_e32 v32, 7, v24
	s_wait_alu 0xfffd
	v_cndmask_b32_e32 v26, v39, v26, vcc_lo
	v_cmp_lt_i32_e32 vcc_lo, 5, v28
	v_lshrrev_b32_e32 v24, 2, v24
	v_cmp_lt_i32_e64 s7, 5, v32
	v_cmp_eq_u32_e64 s8, 3, v32
	s_or_b32 vcc_lo, s0, vcc_lo
	s_wait_alu 0xfffe
	v_add_co_ci_u32_e32 v16, vcc_lo, 0, v16, vcc_lo
	v_and_b32_e32 v29, 7, v18
	v_lshrrev_b32_e32 v18, 2, v18
	s_delay_alu instid0(VALU_DEP_2) | instskip(SKIP_1) | instid1(VALU_DEP_1)
	v_cmp_lt_i32_e64 s1, 5, v29
	v_cmp_eq_u32_e64 s2, 3, v29
	s_or_b32 vcc_lo, s2, s1
	s_wait_alu 0xfffe
	v_add_co_ci_u32_e32 v18, vcc_lo, 0, v18, vcc_lo
	s_or_b32 vcc_lo, s4, s3
	s_wait_alu 0xfffe
	v_add_co_ci_u32_e32 v20, vcc_lo, 0, v20, vcc_lo
	v_and_b32_e32 v31, 7, v22
	v_lshrrev_b32_e32 v22, 2, v22
	s_delay_alu instid0(VALU_DEP_2) | instskip(SKIP_1) | instid1(VALU_DEP_1)
	v_cmp_lt_i32_e64 s5, 5, v31
	v_cmp_eq_u32_e64 s6, 3, v31
	s_or_b32 vcc_lo, s6, s5
	s_wait_alu 0xfffe
	v_add_co_ci_u32_e32 v22, vcc_lo, 0, v22, vcc_lo
	s_or_b32 vcc_lo, s8, s7
	s_wait_alu 0xfffe
	v_add_co_ci_u32_e32 v24, vcc_lo, 0, v24, vcc_lo
	v_and_b32_e32 v33, 7, v26
	v_lshrrev_b32_e32 v26, 2, v26
	s_delay_alu instid0(VALU_DEP_2) | instskip(SKIP_1) | instid1(VALU_DEP_1)
	v_cmp_lt_i32_e64 s9, 5, v33
	v_cmp_eq_u32_e64 s10, 3, v33
	s_or_b32 vcc_lo, s10, s9
	s_wait_alu 0xfffe
	v_add_co_ci_u32_e32 v26, vcc_lo, 0, v26, vcc_lo
	v_cmp_gt_i32_e32 vcc_lo, 31, v17
	s_wait_alu 0xfffd
	v_cndmask_b32_e32 v16, 0x7c00, v16, vcc_lo
	v_cmp_gt_i32_e32 vcc_lo, 31, v19
	s_wait_alu 0xfffd
	v_cndmask_b32_e32 v18, 0x7c00, v18, vcc_lo
	;; [unrolled: 3-line block ×6, first 2 shown]
	v_cmp_eq_u32_e32 vcc_lo, 0x40f, v17
	s_wait_alu 0xfffd
	v_cndmask_b32_e32 v2, v16, v2, vcc_lo
	v_cmp_eq_u32_e32 vcc_lo, 0x40f, v19
	s_delay_alu instid0(VALU_DEP_2) | instskip(SKIP_3) | instid1(VALU_DEP_2)
	v_and_or_b32 v2, 0x8000, v3, v2
	s_wait_alu 0xfffd
	v_cndmask_b32_e32 v4, v18, v4, vcc_lo
	v_cmp_eq_u32_e32 vcc_lo, 0x40f, v21
	v_and_or_b32 v4, 0x8000, v5, v4
	s_wait_alu 0xfffd
	v_cndmask_b32_e32 v6, v20, v6, vcc_lo
	v_cmp_eq_u32_e32 vcc_lo, 0x40f, v23
	s_delay_alu instid0(VALU_DEP_2) | instskip(SKIP_3) | instid1(VALU_DEP_2)
	v_and_or_b32 v3, 0x8000, v7, v6
	s_wait_alu 0xfffd
	v_cndmask_b32_e32 v8, v22, v8, vcc_lo
	v_cmp_eq_u32_e32 vcc_lo, 0x40f, v25
	v_and_or_b32 v6, 0x8000, v9, v8
	s_wait_alu 0xfffd
	v_cndmask_b32_e32 v10, v24, v10, vcc_lo
	v_cmp_eq_u32_e32 vcc_lo, 0x40f, v27
	v_and_b32_e32 v8, 0xffff, v2
	v_and_b32_e32 v9, 0xffff, v3
	s_delay_alu instid0(VALU_DEP_4)
	v_and_or_b32 v5, 0x8000, v11, v10
	s_wait_alu 0xfffd
	v_cndmask_b32_e32 v12, v26, v12, vcc_lo
	v_add_co_u32 v2, vcc_lo, v14, s12
	v_lshl_or_b32 v4, v4, 16, v8
	v_and_b32_e32 v5, 0xffff, v5
	s_delay_alu instid0(VALU_DEP_4) | instskip(SKIP_3) | instid1(VALU_DEP_3)
	v_and_or_b32 v7, 0x8000, v13, v12
	v_lshl_or_b32 v6, v6, 16, v9
	s_wait_alu 0xfffd
	v_add_co_ci_u32_e32 v3, vcc_lo, s13, v15, vcc_lo
	v_lshl_or_b32 v5, v7, 16, v5
	global_store_b32 v[0:1], v4, off
	global_store_b32 v[14:15], v6, off
	;; [unrolled: 1-line block ×3, first 2 shown]
.LBB0_47:
	s_nop 0
	s_sendmsg sendmsg(MSG_DEALLOC_VGPRS)
	s_endpgm
	.section	.rodata,"a",@progbits
	.p2align	6, 0x0
	.amdhsa_kernel bluestein_single_back_len1944_dim1_half_op_CI_CI
		.amdhsa_group_segment_fixed_size 7776
		.amdhsa_private_segment_fixed_size 0
		.amdhsa_kernarg_size 104
		.amdhsa_user_sgpr_count 2
		.amdhsa_user_sgpr_dispatch_ptr 0
		.amdhsa_user_sgpr_queue_ptr 0
		.amdhsa_user_sgpr_kernarg_segment_ptr 1
		.amdhsa_user_sgpr_dispatch_id 0
		.amdhsa_user_sgpr_private_segment_size 0
		.amdhsa_wavefront_size32 1
		.amdhsa_uses_dynamic_stack 0
		.amdhsa_enable_private_segment 0
		.amdhsa_system_sgpr_workgroup_id_x 1
		.amdhsa_system_sgpr_workgroup_id_y 0
		.amdhsa_system_sgpr_workgroup_id_z 0
		.amdhsa_system_sgpr_workgroup_info 0
		.amdhsa_system_vgpr_workitem_id 0
		.amdhsa_next_free_vgpr 121
		.amdhsa_next_free_sgpr 18
		.amdhsa_reserve_vcc 1
		.amdhsa_float_round_mode_32 0
		.amdhsa_float_round_mode_16_64 0
		.amdhsa_float_denorm_mode_32 3
		.amdhsa_float_denorm_mode_16_64 3
		.amdhsa_fp16_overflow 0
		.amdhsa_workgroup_processor_mode 1
		.amdhsa_memory_ordered 1
		.amdhsa_forward_progress 0
		.amdhsa_round_robin_scheduling 0
		.amdhsa_exception_fp_ieee_invalid_op 0
		.amdhsa_exception_fp_denorm_src 0
		.amdhsa_exception_fp_ieee_div_zero 0
		.amdhsa_exception_fp_ieee_overflow 0
		.amdhsa_exception_fp_ieee_underflow 0
		.amdhsa_exception_fp_ieee_inexact 0
		.amdhsa_exception_int_div_zero 0
	.end_amdhsa_kernel
	.text
.Lfunc_end0:
	.size	bluestein_single_back_len1944_dim1_half_op_CI_CI, .Lfunc_end0-bluestein_single_back_len1944_dim1_half_op_CI_CI
                                        ; -- End function
	.section	.AMDGPU.csdata,"",@progbits
; Kernel info:
; codeLenInByte = 17796
; NumSgprs: 20
; NumVgprs: 121
; ScratchSize: 0
; MemoryBound: 0
; FloatMode: 240
; IeeeMode: 1
; LDSByteSize: 7776 bytes/workgroup (compile time only)
; SGPRBlocks: 2
; VGPRBlocks: 15
; NumSGPRsForWavesPerEU: 20
; NumVGPRsForWavesPerEU: 121
; Occupancy: 10
; WaveLimiterHint : 1
; COMPUTE_PGM_RSRC2:SCRATCH_EN: 0
; COMPUTE_PGM_RSRC2:USER_SGPR: 2
; COMPUTE_PGM_RSRC2:TRAP_HANDLER: 0
; COMPUTE_PGM_RSRC2:TGID_X_EN: 1
; COMPUTE_PGM_RSRC2:TGID_Y_EN: 0
; COMPUTE_PGM_RSRC2:TGID_Z_EN: 0
; COMPUTE_PGM_RSRC2:TIDIG_COMP_CNT: 0
	.text
	.p2alignl 7, 3214868480
	.fill 96, 4, 3214868480
	.type	__hip_cuid_b9d93020766396ae,@object ; @__hip_cuid_b9d93020766396ae
	.section	.bss,"aw",@nobits
	.globl	__hip_cuid_b9d93020766396ae
__hip_cuid_b9d93020766396ae:
	.byte	0                               ; 0x0
	.size	__hip_cuid_b9d93020766396ae, 1

	.ident	"AMD clang version 19.0.0git (https://github.com/RadeonOpenCompute/llvm-project roc-6.4.0 25133 c7fe45cf4b819c5991fe208aaa96edf142730f1d)"
	.section	".note.GNU-stack","",@progbits
	.addrsig
	.addrsig_sym __hip_cuid_b9d93020766396ae
	.amdgpu_metadata
---
amdhsa.kernels:
  - .args:
      - .actual_access:  read_only
        .address_space:  global
        .offset:         0
        .size:           8
        .value_kind:     global_buffer
      - .actual_access:  read_only
        .address_space:  global
        .offset:         8
        .size:           8
        .value_kind:     global_buffer
      - .actual_access:  read_only
        .address_space:  global
        .offset:         16
        .size:           8
        .value_kind:     global_buffer
      - .actual_access:  read_only
        .address_space:  global
        .offset:         24
        .size:           8
        .value_kind:     global_buffer
      - .actual_access:  read_only
        .address_space:  global
        .offset:         32
        .size:           8
        .value_kind:     global_buffer
      - .offset:         40
        .size:           8
        .value_kind:     by_value
      - .address_space:  global
        .offset:         48
        .size:           8
        .value_kind:     global_buffer
      - .address_space:  global
        .offset:         56
        .size:           8
        .value_kind:     global_buffer
      - .address_space:  global
        .offset:         64
        .size:           8
        .value_kind:     global_buffer
      - .address_space:  global
        .offset:         72
        .size:           8
        .value_kind:     global_buffer
      - .offset:         80
        .size:           4
        .value_kind:     by_value
      - .address_space:  global
        .offset:         88
        .size:           8
        .value_kind:     global_buffer
      - .address_space:  global
        .offset:         96
        .size:           8
        .value_kind:     global_buffer
    .group_segment_fixed_size: 7776
    .kernarg_segment_align: 8
    .kernarg_segment_size: 104
    .language:       OpenCL C
    .language_version:
      - 2
      - 0
    .max_flat_workgroup_size: 243
    .name:           bluestein_single_back_len1944_dim1_half_op_CI_CI
    .private_segment_fixed_size: 0
    .sgpr_count:     20
    .sgpr_spill_count: 0
    .symbol:         bluestein_single_back_len1944_dim1_half_op_CI_CI.kd
    .uniform_work_group_size: 1
    .uses_dynamic_stack: false
    .vgpr_count:     121
    .vgpr_spill_count: 0
    .wavefront_size: 32
    .workgroup_processor_mode: 1
amdhsa.target:   amdgcn-amd-amdhsa--gfx1201
amdhsa.version:
  - 1
  - 2
...

	.end_amdgpu_metadata
